;; amdgpu-corpus repo=ROCm/rocFFT kind=compiled arch=gfx1100 opt=O3
	.text
	.amdgcn_target "amdgcn-amd-amdhsa--gfx1100"
	.amdhsa_code_object_version 6
	.protected	bluestein_single_back_len1734_dim1_dp_op_CI_CI ; -- Begin function bluestein_single_back_len1734_dim1_dp_op_CI_CI
	.globl	bluestein_single_back_len1734_dim1_dp_op_CI_CI
	.p2align	8
	.type	bluestein_single_back_len1734_dim1_dp_op_CI_CI,@function
bluestein_single_back_len1734_dim1_dp_op_CI_CI: ; @bluestein_single_back_len1734_dim1_dp_op_CI_CI
; %bb.0:
	s_load_b128 s[16:19], s[0:1], 0x28
	v_mul_u32_u24_e32 v1, 0x283, v0
	s_mov_b32 s2, exec_lo
	v_mov_b32_e32 v5, 0
	s_delay_alu instid0(VALU_DEP_2) | instskip(NEXT) | instid1(VALU_DEP_1)
	v_lshrrev_b32_e32 v1, 16, v1
	v_add_nc_u32_e32 v4, s15, v1
	s_waitcnt lgkmcnt(0)
	s_delay_alu instid0(VALU_DEP_1)
	v_cmpx_gt_u64_e64 s[16:17], v[4:5]
	s_cbranch_execz .LBB0_10
; %bb.1:
	s_clause 0x2
	s_load_b128 s[8:11], s[0:1], 0x0
	s_load_b128 s[20:23], s[0:1], 0x18
	s_load_b64 s[12:13], s[0:1], 0x38
	v_mul_lo_u16 v1, 0x66, v1
	v_mov_b32_e32 v2, v4
	s_mov_b32 s42, 0x5d8e7cdc
	s_mov_b32 s46, 0x2a9d6da3
	s_mov_b32 s52, 0x7c9e640b
	v_sub_nc_u16 v208, v0, v1
	s_mov_b32 s44, 0xeb564b22
	s_mov_b32 s28, 0x4363dd80
	;; [unrolled: 1-line block ×4, first 2 shown]
	v_and_b32_e32 v6, 0xffff, v208
	s_mov_b32 s47, 0xbfe58eea
	s_mov_b32 s53, 0xbfeca52d
	;; [unrolled: 1-line block ×7, first 2 shown]
	s_waitcnt lgkmcnt(0)
	s_load_b128 s[4:7], s[22:23], 0x0
	s_load_b128 s[0:3], s[20:21], 0x0
	scratch_store_b64 off, v[2:3], off offset:20 ; 8-byte Folded Spill
	s_mov_b32 s22, 0x6c9a05f6
	s_mov_b32 s23, 0xbfe9895b
	;; [unrolled: 1-line block ×18, first 2 shown]
	s_waitcnt lgkmcnt(0)
	v_mad_u64_u32 v[0:1], null, s2, v4, 0
	s_mov_b32 s56, s40
	s_mov_b32 s35, 0x3fe58eea
	s_mov_b32 s34, s46
	s_mov_b32 s49, 0x3fe9895b
	s_mov_b32 s48, s22
	s_mov_b32 s15, 0x3fefdd0d
	s_delay_alu instid0(VALU_DEP_1) | instskip(SKIP_1) | instid1(VALU_DEP_1)
	v_mad_u64_u32 v[2:3], null, s3, v4, v[1:2]
	s_mov_b32 s14, s44
	v_mov_b32_e32 v1, v2
	scratch_store_b32 off, v6, off          ; 4-byte Folded Spill
	v_mad_u64_u32 v[2:3], null, s0, v6, 0
	v_lshlrev_b32_e32 v246, 4, v6
	v_lshlrev_b64 v[0:1], 4, v[0:1]
	global_load_b128 v[10:13], v246, s[8:9]
	v_mad_u64_u32 v[4:5], null, s1, v6, v[3:4]
	v_add_co_u32 v242, s2, s8, v246
	s_mulk_i32 s1, 0x660
	v_add_co_ci_u32_e64 v243, null, s9, 0, s2
	s_mul_hi_u32 s2, s0, 0x660
	s_delay_alu instid0(VALU_DEP_3) | instskip(SKIP_2) | instid1(VALU_DEP_3)
	v_mov_b32_e32 v3, v4
	v_add_co_u32 v4, vcc_lo, s18, v0
	v_add_co_ci_u32_e32 v5, vcc_lo, s19, v1, vcc_lo
	v_lshlrev_b64 v[0:1], 4, v[2:3]
	s_mulk_i32 s0, 0x660
	s_add_i32 s1, s2, s1
	s_mov_b32 s2, 0xc61f0d01
	s_mov_b32 s18, 0x6ed5f1bb
	;; [unrolled: 1-line block ×3, first 2 shown]
	v_add_co_u32 v8, vcc_lo, v4, v0
	v_add_co_ci_u32_e32 v9, vcc_lo, v5, v1, vcc_lo
	s_mov_b32 s19, 0xbfe348c8
	global_load_b128 v[0:3], v[8:9], off
	s_waitcnt vmcnt(1)
	scratch_store_b128 off, v[10:13], off offset:28 ; 16-byte Folded Spill
	s_waitcnt vmcnt(0)
	v_mul_f64 v[4:5], v[2:3], v[12:13]
	s_delay_alu instid0(VALU_DEP_1) | instskip(SKIP_1) | instid1(VALU_DEP_1)
	v_fma_f64 v[4:5], v[0:1], v[10:11], v[4:5]
	v_mul_f64 v[0:1], v[0:1], v[12:13]
	v_fma_f64 v[6:7], v[2:3], v[10:11], -v[0:1]
	ds_store_b128 v246, v[4:7]
	v_add_co_u32 v4, vcc_lo, v8, s0
	v_add_co_ci_u32_e32 v5, vcc_lo, s1, v9, vcc_lo
	global_load_b128 v[0:3], v[4:5], off
	global_load_b128 v[10:13], v246, s[8:9] offset:1632
	v_add_co_u32 v4, vcc_lo, v4, s0
	v_add_co_ci_u32_e32 v5, vcc_lo, s1, v5, vcc_lo
	s_waitcnt vmcnt(0)
	v_mul_f64 v[6:7], v[2:3], v[12:13]
	scratch_store_b128 off, v[10:13], off offset:44 ; 16-byte Folded Spill
	v_fma_f64 v[8:9], v[0:1], v[10:11], v[6:7]
	v_mul_f64 v[0:1], v[0:1], v[12:13]
	s_delay_alu instid0(VALU_DEP_1)
	v_fma_f64 v[10:11], v[2:3], v[10:11], -v[0:1]
	ds_store_b128 v246, v[8:11] offset:1632
	global_load_b128 v[0:3], v[4:5], off
	global_load_b128 v[8:11], v246, s[8:9] offset:3264
	v_add_co_u32 v4, vcc_lo, v4, s0
	v_add_co_ci_u32_e32 v5, vcc_lo, s1, v5, vcc_lo
	s_mov_b32 s8, 0x923c349f
	s_mov_b32 s9, 0xbfeec746
	;; [unrolled: 1-line block ×3, first 2 shown]
	s_waitcnt vmcnt(0)
	v_mul_f64 v[6:7], v[2:3], v[10:11]
	scratch_store_b128 off, v[8:11], off offset:60 ; 16-byte Folded Spill
	v_fma_f64 v[12:13], v[0:1], v[8:9], v[6:7]
	v_mul_f64 v[0:1], v[0:1], v[10:11]
	v_add_co_u32 v6, vcc_lo, 0x1000, v242
	v_add_co_ci_u32_e32 v7, vcc_lo, 0, v243, vcc_lo
	s_delay_alu instid0(VALU_DEP_3)
	v_fma_f64 v[14:15], v[2:3], v[8:9], -v[0:1]
	global_load_b128 v[0:3], v[4:5], off
	v_add_co_u32 v4, vcc_lo, v4, s0
	v_add_co_ci_u32_e32 v5, vcc_lo, s1, v5, vcc_lo
	ds_store_b128 v246, v[12:15] offset:3264
	global_load_b128 v[10:13], v[6:7], off offset:800
	s_waitcnt vmcnt(0)
	v_mul_f64 v[8:9], v[2:3], v[12:13]
	scratch_store_b128 off, v[10:13], off offset:76 ; 16-byte Folded Spill
	v_fma_f64 v[16:17], v[0:1], v[10:11], v[8:9]
	v_mul_f64 v[0:1], v[0:1], v[12:13]
	s_delay_alu instid0(VALU_DEP_1)
	v_fma_f64 v[18:19], v[2:3], v[10:11], -v[0:1]
	ds_store_b128 v246, v[16:19] offset:4896
	global_load_b128 v[0:3], v[4:5], off
	global_load_b128 v[10:13], v[6:7], off offset:2432
	v_add_co_u32 v4, vcc_lo, v4, s0
	v_add_co_ci_u32_e32 v5, vcc_lo, s1, v5, vcc_lo
	s_waitcnt vmcnt(0)
	v_mul_f64 v[8:9], v[2:3], v[12:13]
	scratch_store_b128 off, v[10:13], off offset:92 ; 16-byte Folded Spill
	v_fma_f64 v[20:21], v[0:1], v[10:11], v[8:9]
	v_mul_f64 v[0:1], v[0:1], v[12:13]
	s_delay_alu instid0(VALU_DEP_1)
	v_fma_f64 v[22:23], v[2:3], v[10:11], -v[0:1]
	ds_store_b128 v246, v[20:23] offset:6528
	global_load_b128 v[0:3], v[4:5], off
	global_load_b128 v[8:11], v[6:7], off offset:4064
	v_add_co_u32 v4, vcc_lo, v4, s0
	v_add_co_ci_u32_e32 v5, vcc_lo, s1, v5, vcc_lo
	s_waitcnt vmcnt(0)
	v_mul_f64 v[6:7], v[2:3], v[10:11]
	scratch_store_b128 off, v[8:11], off offset:108 ; 16-byte Folded Spill
	v_fma_f64 v[24:25], v[0:1], v[8:9], v[6:7]
	v_mul_f64 v[0:1], v[0:1], v[10:11]
	v_add_co_u32 v6, vcc_lo, 0x2000, v242
	v_add_co_ci_u32_e32 v7, vcc_lo, 0, v243, vcc_lo
	global_load_b128 v[10:13], v[6:7], off offset:1600
	v_fma_f64 v[26:27], v[2:3], v[8:9], -v[0:1]
	global_load_b128 v[0:3], v[4:5], off
	v_add_co_u32 v4, vcc_lo, v4, s0
	v_add_co_ci_u32_e32 v5, vcc_lo, s1, v5, vcc_lo
	s_waitcnt vmcnt(1)
	scratch_store_b128 off, v[10:13], off offset:124 ; 16-byte Folded Spill
	s_waitcnt vmcnt(0)
	v_mul_f64 v[8:9], v[2:3], v[12:13]
	s_delay_alu instid0(VALU_DEP_1) | instskip(SKIP_1) | instid1(VALU_DEP_1)
	v_fma_f64 v[28:29], v[0:1], v[10:11], v[8:9]
	v_mul_f64 v[0:1], v[0:1], v[12:13]
	v_fma_f64 v[30:31], v[2:3], v[10:11], -v[0:1]
	ds_store_b128 v246, v[24:27] offset:8160
	ds_store_b128 v246, v[28:31] offset:9792
	global_load_b128 v[0:3], v[4:5], off
	global_load_b128 v[8:11], v[6:7], off offset:3232
	v_add_co_u32 v4, vcc_lo, v4, s0
	v_add_co_ci_u32_e32 v5, vcc_lo, s1, v5, vcc_lo
	s_waitcnt vmcnt(0)
	v_mul_f64 v[6:7], v[2:3], v[10:11]
	scratch_store_b128 off, v[8:11], off offset:140 ; 16-byte Folded Spill
	v_fma_f64 v[32:33], v[0:1], v[8:9], v[6:7]
	v_mul_f64 v[0:1], v[0:1], v[10:11]
	v_add_co_u32 v6, vcc_lo, 0x3000, v242
	v_add_co_ci_u32_e32 v7, vcc_lo, 0, v243, vcc_lo
	global_load_b128 v[10:13], v[6:7], off offset:768
	v_fma_f64 v[34:35], v[2:3], v[8:9], -v[0:1]
	global_load_b128 v[0:3], v[4:5], off
	v_add_co_u32 v4, vcc_lo, v4, s0
	v_add_co_ci_u32_e32 v5, vcc_lo, s1, v5, vcc_lo
	s_waitcnt vmcnt(1)
	scratch_store_b128 off, v[10:13], off offset:156 ; 16-byte Folded Spill
	s_waitcnt vmcnt(0)
	v_mul_f64 v[8:9], v[2:3], v[12:13]
	s_delay_alu instid0(VALU_DEP_1) | instskip(SKIP_1) | instid1(VALU_DEP_1)
	v_fma_f64 v[36:37], v[0:1], v[10:11], v[8:9]
	v_mul_f64 v[0:1], v[0:1], v[12:13]
	v_fma_f64 v[38:39], v[2:3], v[10:11], -v[0:1]
	ds_store_b128 v246, v[32:35] offset:11424
	ds_store_b128 v246, v[36:39] offset:13056
	global_load_b128 v[0:3], v[4:5], off
	global_load_b128 v[10:13], v[6:7], off offset:2400
	v_add_co_u32 v4, vcc_lo, v4, s0
	v_add_co_ci_u32_e32 v5, vcc_lo, s1, v5, vcc_lo
	s_waitcnt vmcnt(0)
	v_mul_f64 v[8:9], v[2:3], v[12:13]
	scratch_store_b128 off, v[10:13], off offset:172 ; 16-byte Folded Spill
	v_fma_f64 v[40:41], v[0:1], v[10:11], v[8:9]
	v_mul_f64 v[0:1], v[0:1], v[12:13]
	s_delay_alu instid0(VALU_DEP_1)
	v_fma_f64 v[42:43], v[2:3], v[10:11], -v[0:1]
	ds_store_b128 v246, v[40:43] offset:14688
	global_load_b128 v[0:3], v[4:5], off
	global_load_b128 v[8:11], v[6:7], off offset:4032
	v_add_co_u32 v4, vcc_lo, v4, s0
	v_add_co_ci_u32_e32 v5, vcc_lo, s1, v5, vcc_lo
	s_waitcnt vmcnt(0)
	v_mul_f64 v[6:7], v[2:3], v[10:11]
	scratch_store_b128 off, v[8:11], off offset:188 ; 16-byte Folded Spill
	v_fma_f64 v[44:45], v[0:1], v[8:9], v[6:7]
	v_mul_f64 v[0:1], v[0:1], v[10:11]
	v_add_co_u32 v6, vcc_lo, 0x4000, v242
	v_add_co_ci_u32_e32 v7, vcc_lo, 0, v243, vcc_lo
	global_load_b128 v[10:13], v[6:7], off offset:1568
	v_fma_f64 v[46:47], v[2:3], v[8:9], -v[0:1]
	global_load_b128 v[0:3], v[4:5], off
	v_add_co_u32 v4, vcc_lo, v4, s0
	v_add_co_ci_u32_e32 v5, vcc_lo, s1, v5, vcc_lo
	s_waitcnt vmcnt(1)
	scratch_store_b128 off, v[10:13], off offset:204 ; 16-byte Folded Spill
	s_waitcnt vmcnt(0)
	v_mul_f64 v[8:9], v[2:3], v[12:13]
	s_delay_alu instid0(VALU_DEP_1) | instskip(SKIP_1) | instid1(VALU_DEP_1)
	v_fma_f64 v[48:49], v[0:1], v[10:11], v[8:9]
	v_mul_f64 v[0:1], v[0:1], v[12:13]
	v_fma_f64 v[50:51], v[2:3], v[10:11], -v[0:1]
	ds_store_b128 v246, v[44:47] offset:16320
	ds_store_b128 v246, v[48:51] offset:17952
	global_load_b128 v[0:3], v[4:5], off
	global_load_b128 v[8:11], v[6:7], off offset:3200
	v_add_co_u32 v4, vcc_lo, v4, s0
	v_add_co_ci_u32_e32 v5, vcc_lo, s1, v5, vcc_lo
	s_waitcnt vmcnt(0)
	v_mul_f64 v[6:7], v[2:3], v[10:11]
	scratch_store_b128 off, v[8:11], off offset:220 ; 16-byte Folded Spill
	v_fma_f64 v[52:53], v[0:1], v[8:9], v[6:7]
	v_mul_f64 v[0:1], v[0:1], v[10:11]
	v_add_co_u32 v6, vcc_lo, 0x5000, v242
	v_add_co_ci_u32_e32 v7, vcc_lo, 0, v243, vcc_lo
	global_load_b128 v[10:13], v[6:7], off offset:736
	v_fma_f64 v[54:55], v[2:3], v[8:9], -v[0:1]
	global_load_b128 v[0:3], v[4:5], off
	v_add_co_u32 v4, vcc_lo, v4, s0
	v_add_co_ci_u32_e32 v5, vcc_lo, s1, v5, vcc_lo
	s_waitcnt vmcnt(1)
	scratch_store_b128 off, v[10:13], off offset:236 ; 16-byte Folded Spill
	s_waitcnt vmcnt(0)
	v_mul_f64 v[8:9], v[2:3], v[12:13]
	s_delay_alu instid0(VALU_DEP_1) | instskip(SKIP_1) | instid1(VALU_DEP_1)
	v_fma_f64 v[56:57], v[0:1], v[10:11], v[8:9]
	v_mul_f64 v[0:1], v[0:1], v[12:13]
	v_fma_f64 v[58:59], v[2:3], v[10:11], -v[0:1]
	ds_store_b128 v246, v[52:55] offset:19584
	ds_store_b128 v246, v[56:59] offset:21216
	global_load_b128 v[0:3], v[4:5], off
	global_load_b128 v[10:13], v[6:7], off offset:2368
	v_add_co_u32 v4, vcc_lo, v4, s0
	v_add_co_ci_u32_e32 v5, vcc_lo, s1, v5, vcc_lo
	s_waitcnt vmcnt(0)
	v_mul_f64 v[8:9], v[2:3], v[12:13]
	scratch_store_b128 off, v[10:13], off offset:252 ; 16-byte Folded Spill
	v_fma_f64 v[60:61], v[0:1], v[10:11], v[8:9]
	v_mul_f64 v[0:1], v[0:1], v[12:13]
	s_delay_alu instid0(VALU_DEP_1)
	v_fma_f64 v[62:63], v[2:3], v[10:11], -v[0:1]
	ds_store_b128 v246, v[60:63] offset:22848
	global_load_b128 v[0:3], v[4:5], off
	global_load_b128 v[8:11], v[6:7], off offset:4000
	s_waitcnt vmcnt(0)
	v_mul_f64 v[6:7], v[2:3], v[10:11]
	scratch_store_b128 off, v[8:11], off offset:268 ; 16-byte Folded Spill
	v_fma_f64 v[64:65], v[0:1], v[8:9], v[6:7]
	v_mul_f64 v[0:1], v[0:1], v[10:11]
	s_delay_alu instid0(VALU_DEP_1)
	v_fma_f64 v[66:67], v[2:3], v[8:9], -v[0:1]
	v_add_co_u32 v0, vcc_lo, v4, s0
	v_add_co_ci_u32_e32 v1, vcc_lo, s1, v5, vcc_lo
	v_add_co_u32 v212, vcc_lo, 0x6000, v242
	v_add_co_ci_u32_e32 v213, vcc_lo, 0, v243, vcc_lo
	global_load_b128 v[0:3], v[0:1], off
	s_mov_b32 s0, 0x3259b75e
	s_mov_b32 s1, 0x3fb79ee6
	global_load_b128 v[6:9], v[212:213], off offset:1536
	v_cmp_gt_u16_e64 vcc_lo, 0x55, v208
	s_waitcnt vmcnt(0)
	v_mul_f64 v[4:5], v[2:3], v[8:9]
	scratch_store_b128 off, v[6:9], off offset:284 ; 16-byte Folded Spill
	v_fma_f64 v[68:69], v[0:1], v[6:7], v[4:5]
	v_mul_f64 v[0:1], v[0:1], v[8:9]
	s_delay_alu instid0(VALU_DEP_1)
	v_fma_f64 v[70:71], v[2:3], v[6:7], -v[0:1]
	ds_store_b128 v246, v[64:67] offset:24480
	ds_store_b128 v246, v[68:71] offset:26112
	s_waitcnt lgkmcnt(0)
	s_waitcnt_vscnt null, 0x0
	s_barrier
	buffer_gl0_inv
	ds_load_b128 v[0:3], v246
	ds_load_b128 v[104:107], v246 offset:1632
	ds_load_b128 v[108:111], v246 offset:3264
	;; [unrolled: 1-line block ×16, first 2 shown]
	s_waitcnt lgkmcnt(0)
	s_barrier
	buffer_gl0_inv
	v_add_f64 v[4:5], v[0:1], v[104:105]
	v_add_f64 v[6:7], v[2:3], v[106:107]
	v_add_f64 v[10:11], v[106:107], -v[134:135]
	v_add_f64 v[8:9], v[104:105], -v[132:133]
	s_delay_alu instid0(VALU_DEP_4) | instskip(NEXT) | instid1(VALU_DEP_4)
	v_add_f64 v[4:5], v[4:5], v[108:109]
	v_add_f64 v[6:7], v[6:7], v[110:111]
	s_delay_alu instid0(VALU_DEP_4)
	v_mul_f64 v[12:13], v[10:11], s[42:43]
	v_mul_f64 v[20:21], v[10:11], s[46:47]
	;; [unrolled: 1-line block ×12, first 2 shown]
	v_add_f64 v[4:5], v[4:5], v[112:113]
	v_add_f64 v[6:7], v[6:7], v[114:115]
	s_delay_alu instid0(VALU_DEP_2) | instskip(NEXT) | instid1(VALU_DEP_2)
	v_add_f64 v[4:5], v[4:5], v[116:117]
	v_add_f64 v[6:7], v[6:7], v[118:119]
	s_delay_alu instid0(VALU_DEP_2) | instskip(NEXT) | instid1(VALU_DEP_2)
	;; [unrolled: 3-line block ×12, first 2 shown]
	v_add_f64 v[4:5], v[4:5], v[128:129]
	v_add_f64 v[6:7], v[6:7], v[130:131]
	s_delay_alu instid0(VALU_DEP_2)
	v_add_f64 v[68:69], v[4:5], v[132:133]
	v_add_f64 v[4:5], v[104:105], v[132:133]
	v_mul_f64 v[104:105], v[10:11], s[52:53]
	v_mul_f64 v[10:11], v[10:11], s[40:41]
	v_add_f64 v[70:71], v[6:7], v[134:135]
	v_add_f64 v[6:7], v[106:107], v[134:135]
	v_mul_f64 v[132:133], v[8:9], s[52:53]
	v_mul_f64 v[8:9], v[8:9], s[40:41]
	v_fma_f64 v[14:15], v[4:5], s[30:31], -v[12:13]
	v_fma_f64 v[12:13], v[4:5], s[30:31], v[12:13]
	v_fma_f64 v[22:23], v[4:5], s[24:25], -v[20:21]
	v_fma_f64 v[20:21], v[4:5], s[24:25], v[20:21]
	;; [unrolled: 2-line block ×8, first 2 shown]
	v_fma_f64 v[18:19], v[6:7], s[30:31], v[16:17]
	v_fma_f64 v[16:17], v[6:7], s[30:31], -v[16:17]
	v_fma_f64 v[26:27], v[6:7], s[24:25], v[24:25]
	v_fma_f64 v[24:25], v[6:7], s[24:25], -v[24:25]
	;; [unrolled: 2-line block ×7, first 2 shown]
	v_fma_f64 v[170:171], v[6:7], s[38:39], v[8:9]
	v_add_f64 v[10:11], v[110:111], -v[130:131]
	v_add_f64 v[14:15], v[0:1], v[14:15]
	v_add_f64 v[12:13], v[0:1], v[12:13]
	;; [unrolled: 1-line block ×16, first 2 shown]
	v_fma_f64 v[4:5], v[6:7], s[38:39], -v[8:9]
	v_add_f64 v[18:19], v[2:3], v[18:19]
	v_add_f64 v[16:17], v[2:3], v[16:17]
	;; [unrolled: 1-line block ×15, first 2 shown]
	v_add_f64 v[8:9], v[108:109], -v[128:129]
	v_add_f64 v[6:7], v[110:111], v[130:131]
	v_add_f64 v[2:3], v[2:3], v[4:5]
	;; [unrolled: 1-line block ×3, first 2 shown]
	v_mul_f64 v[108:109], v[10:11], s[46:47]
	s_delay_alu instid0(VALU_DEP_1) | instskip(SKIP_1) | instid1(VALU_DEP_2)
	v_fma_f64 v[110:111], v[4:5], s[24:25], -v[108:109]
	v_fma_f64 v[108:109], v[4:5], s[24:25], v[108:109]
	v_add_f64 v[14:15], v[110:111], v[14:15]
	v_mul_f64 v[110:111], v[8:9], s[46:47]
	s_delay_alu instid0(VALU_DEP_3) | instskip(NEXT) | instid1(VALU_DEP_2)
	v_add_f64 v[12:13], v[108:109], v[12:13]
	v_fma_f64 v[108:109], v[6:7], s[24:25], -v[110:111]
	v_fma_f64 v[128:129], v[6:7], s[24:25], v[110:111]
	s_delay_alu instid0(VALU_DEP_2) | instskip(SKIP_1) | instid1(VALU_DEP_3)
	v_add_f64 v[16:17], v[108:109], v[16:17]
	v_mul_f64 v[108:109], v[10:11], s[44:45]
	v_add_f64 v[18:19], v[128:129], v[18:19]
	s_delay_alu instid0(VALU_DEP_2) | instskip(SKIP_1) | instid1(VALU_DEP_2)
	v_fma_f64 v[110:111], v[4:5], s[0:1], -v[108:109]
	v_fma_f64 v[108:109], v[4:5], s[0:1], v[108:109]
	v_add_f64 v[22:23], v[110:111], v[22:23]
	v_mul_f64 v[110:111], v[8:9], s[44:45]
	s_delay_alu instid0(VALU_DEP_3) | instskip(NEXT) | instid1(VALU_DEP_2)
	v_add_f64 v[20:21], v[108:109], v[20:21]
	v_fma_f64 v[108:109], v[6:7], s[0:1], -v[110:111]
	v_fma_f64 v[128:129], v[6:7], s[0:1], v[110:111]
	s_delay_alu instid0(VALU_DEP_2) | instskip(SKIP_1) | instid1(VALU_DEP_3)
	v_add_f64 v[24:25], v[108:109], v[24:25]
	v_mul_f64 v[108:109], v[10:11], s[22:23]
	v_add_f64 v[26:27], v[128:129], v[26:27]
	s_delay_alu instid0(VALU_DEP_2) | instskip(SKIP_1) | instid1(VALU_DEP_2)
	v_fma_f64 v[110:111], v[4:5], s[18:19], -v[108:109]
	v_fma_f64 v[108:109], v[4:5], s[18:19], v[108:109]
	v_add_f64 v[106:107], v[110:111], v[106:107]
	v_mul_f64 v[110:111], v[8:9], s[22:23]
	s_delay_alu instid0(VALU_DEP_3) | instskip(NEXT) | instid1(VALU_DEP_2)
	v_add_f64 v[104:105], v[108:109], v[104:105]
	v_fma_f64 v[128:129], v[6:7], s[18:19], v[110:111]
	v_fma_f64 v[108:109], v[6:7], s[18:19], -v[110:111]
	v_mul_f64 v[110:111], v[10:11], s[40:41]
	s_delay_alu instid0(VALU_DEP_3) | instskip(NEXT) | instid1(VALU_DEP_3)
	v_add_f64 v[128:129], v[128:129], v[134:135]
	v_add_f64 v[108:109], v[108:109], v[132:133]
	s_delay_alu instid0(VALU_DEP_3) | instskip(SKIP_2) | instid1(VALU_DEP_3)
	v_fma_f64 v[130:131], v[4:5], s[38:39], -v[110:111]
	v_fma_f64 v[110:111], v[4:5], s[38:39], v[110:111]
	v_mul_f64 v[132:133], v[8:9], s[40:41]
	v_add_f64 v[130:131], v[130:131], v[138:139]
	s_delay_alu instid0(VALU_DEP_3) | instskip(SKIP_1) | instid1(VALU_DEP_4)
	v_add_f64 v[110:111], v[110:111], v[136:137]
	v_mul_f64 v[136:137], v[10:11], s[54:55]
	v_fma_f64 v[134:135], v[6:7], s[38:39], v[132:133]
	v_fma_f64 v[132:133], v[6:7], s[38:39], -v[132:133]
	s_delay_alu instid0(VALU_DEP_3) | instskip(SKIP_1) | instid1(VALU_DEP_3)
	v_fma_f64 v[138:139], v[4:5], s[26:27], -v[136:137]
	v_fma_f64 v[136:137], v[4:5], s[26:27], v[136:137]
	v_add_f64 v[132:133], v[132:133], v[140:141]
	v_mul_f64 v[140:141], v[8:9], s[54:55]
	v_add_f64 v[134:135], v[134:135], v[142:143]
	v_add_f64 v[138:139], v[138:139], v[146:147]
	;; [unrolled: 1-line block ×3, first 2 shown]
	v_mul_f64 v[144:145], v[10:11], s[50:51]
	v_fma_f64 v[142:143], v[6:7], s[26:27], v[140:141]
	v_fma_f64 v[140:141], v[6:7], s[26:27], -v[140:141]
	s_delay_alu instid0(VALU_DEP_3) | instskip(SKIP_1) | instid1(VALU_DEP_3)
	v_fma_f64 v[146:147], v[4:5], s[2:3], -v[144:145]
	v_fma_f64 v[144:145], v[4:5], s[2:3], v[144:145]
	v_add_f64 v[140:141], v[140:141], v[148:149]
	v_mul_f64 v[148:149], v[8:9], s[50:51]
	v_add_f64 v[142:143], v[142:143], v[150:151]
	v_add_f64 v[146:147], v[146:147], v[154:155]
	;; [unrolled: 1-line block ×3, first 2 shown]
	v_mul_f64 v[152:153], v[10:11], s[20:21]
	v_fma_f64 v[150:151], v[6:7], s[2:3], v[148:149]
	v_fma_f64 v[148:149], v[6:7], s[2:3], -v[148:149]
	v_mul_f64 v[10:11], v[10:11], s[36:37]
	s_delay_alu instid0(VALU_DEP_4) | instskip(SKIP_1) | instid1(VALU_DEP_4)
	v_fma_f64 v[154:155], v[4:5], s[16:17], -v[152:153]
	v_fma_f64 v[152:153], v[4:5], s[16:17], v[152:153]
	v_add_f64 v[148:149], v[148:149], v[156:157]
	v_mul_f64 v[156:157], v[8:9], s[20:21]
	v_mul_f64 v[8:9], v[8:9], s[36:37]
	v_add_f64 v[150:151], v[150:151], v[158:159]
	v_add_f64 v[154:155], v[154:155], v[162:163]
	;; [unrolled: 1-line block ×3, first 2 shown]
	v_fma_f64 v[160:161], v[4:5], s[30:31], -v[10:11]
	v_fma_f64 v[4:5], v[4:5], s[30:31], v[10:11]
	v_add_f64 v[10:11], v[114:115], -v[126:127]
	v_fma_f64 v[162:163], v[6:7], s[30:31], v[8:9]
	v_fma_f64 v[158:159], v[6:7], s[16:17], v[156:157]
	v_fma_f64 v[156:157], v[6:7], s[16:17], -v[156:157]
	v_add_f64 v[160:161], v[160:161], v[168:169]
	v_add_f64 v[0:1], v[4:5], v[0:1]
	v_fma_f64 v[4:5], v[6:7], s[30:31], -v[8:9]
	v_add_f64 v[8:9], v[112:113], -v[124:125]
	v_add_f64 v[6:7], v[114:115], v[126:127]
	v_add_f64 v[156:157], v[156:157], v[164:165]
	;; [unrolled: 1-line block ×6, first 2 shown]
	v_mul_f64 v[112:113], v[10:11], s[52:53]
	v_mul_f64 v[126:127], v[8:9], s[50:51]
	s_delay_alu instid0(VALU_DEP_2) | instskip(SKIP_1) | instid1(VALU_DEP_2)
	v_fma_f64 v[114:115], v[4:5], s[16:17], -v[112:113]
	v_fma_f64 v[112:113], v[4:5], s[16:17], v[112:113]
	v_add_f64 v[14:15], v[114:115], v[14:15]
	v_mul_f64 v[114:115], v[8:9], s[52:53]
	s_delay_alu instid0(VALU_DEP_3) | instskip(NEXT) | instid1(VALU_DEP_2)
	v_add_f64 v[12:13], v[112:113], v[12:13]
	v_fma_f64 v[112:113], v[6:7], s[16:17], -v[114:115]
	v_fma_f64 v[124:125], v[6:7], s[16:17], v[114:115]
	s_delay_alu instid0(VALU_DEP_2) | instskip(SKIP_1) | instid1(VALU_DEP_3)
	v_add_f64 v[16:17], v[112:113], v[16:17]
	v_mul_f64 v[112:113], v[10:11], s[22:23]
	v_add_f64 v[18:19], v[124:125], v[18:19]
	s_delay_alu instid0(VALU_DEP_2) | instskip(SKIP_1) | instid1(VALU_DEP_2)
	v_fma_f64 v[114:115], v[4:5], s[18:19], -v[112:113]
	v_fma_f64 v[112:113], v[4:5], s[18:19], v[112:113]
	v_add_f64 v[22:23], v[114:115], v[22:23]
	v_mul_f64 v[114:115], v[8:9], s[22:23]
	s_delay_alu instid0(VALU_DEP_3) | instskip(NEXT) | instid1(VALU_DEP_2)
	v_add_f64 v[20:21], v[112:113], v[20:21]
	v_fma_f64 v[112:113], v[6:7], s[18:19], -v[114:115]
	v_fma_f64 v[124:125], v[6:7], s[18:19], v[114:115]
	s_delay_alu instid0(VALU_DEP_2) | instskip(SKIP_1) | instid1(VALU_DEP_3)
	v_add_f64 v[24:25], v[112:113], v[24:25]
	v_mul_f64 v[112:113], v[10:11], s[56:57]
	v_add_f64 v[26:27], v[124:125], v[26:27]
	;; [unrolled: 13-line block ×3, first 2 shown]
	v_fma_f64 v[128:129], v[6:7], s[2:3], v[126:127]
	s_delay_alu instid0(VALU_DEP_3) | instskip(SKIP_1) | instid1(VALU_DEP_3)
	v_fma_f64 v[114:115], v[4:5], s[2:3], -v[112:113]
	v_fma_f64 v[112:113], v[4:5], s[2:3], v[112:113]
	v_add_f64 v[128:129], v[128:129], v[134:135]
	s_delay_alu instid0(VALU_DEP_3) | instskip(NEXT) | instid1(VALU_DEP_3)
	v_add_f64 v[114:115], v[114:115], v[130:131]
	v_add_f64 v[110:111], v[112:113], v[110:111]
	v_fma_f64 v[112:113], v[6:7], s[2:3], -v[126:127]
	v_mul_f64 v[126:127], v[10:11], s[34:35]
	s_delay_alu instid0(VALU_DEP_2) | instskip(NEXT) | instid1(VALU_DEP_2)
	v_add_f64 v[112:113], v[112:113], v[132:133]
	v_fma_f64 v[130:131], v[4:5], s[24:25], -v[126:127]
	v_fma_f64 v[126:127], v[4:5], s[24:25], v[126:127]
	v_mul_f64 v[132:133], v[8:9], s[34:35]
	s_delay_alu instid0(VALU_DEP_3) | instskip(NEXT) | instid1(VALU_DEP_3)
	v_add_f64 v[130:131], v[130:131], v[138:139]
	v_add_f64 v[126:127], v[126:127], v[136:137]
	v_mul_f64 v[136:137], v[10:11], s[42:43]
	s_delay_alu instid0(VALU_DEP_4) | instskip(SKIP_1) | instid1(VALU_DEP_3)
	v_fma_f64 v[134:135], v[6:7], s[24:25], v[132:133]
	v_fma_f64 v[132:133], v[6:7], s[24:25], -v[132:133]
	v_fma_f64 v[138:139], v[4:5], s[30:31], -v[136:137]
	v_fma_f64 v[136:137], v[4:5], s[30:31], v[136:137]
	s_delay_alu instid0(VALU_DEP_3)
	v_add_f64 v[132:133], v[132:133], v[140:141]
	v_mul_f64 v[140:141], v[8:9], s[42:43]
	v_add_f64 v[134:135], v[134:135], v[142:143]
	v_add_f64 v[138:139], v[138:139], v[146:147]
	;; [unrolled: 1-line block ×3, first 2 shown]
	v_mul_f64 v[144:145], v[10:11], s[44:45]
	v_fma_f64 v[142:143], v[6:7], s[30:31], v[140:141]
	v_fma_f64 v[140:141], v[6:7], s[30:31], -v[140:141]
	v_mul_f64 v[10:11], v[10:11], s[28:29]
	s_delay_alu instid0(VALU_DEP_4) | instskip(SKIP_1) | instid1(VALU_DEP_4)
	v_fma_f64 v[146:147], v[4:5], s[0:1], -v[144:145]
	v_fma_f64 v[144:145], v[4:5], s[0:1], v[144:145]
	v_add_f64 v[140:141], v[140:141], v[148:149]
	v_mul_f64 v[148:149], v[8:9], s[44:45]
	v_mul_f64 v[8:9], v[8:9], s[28:29]
	v_add_f64 v[142:143], v[142:143], v[150:151]
	v_add_f64 v[146:147], v[146:147], v[154:155]
	;; [unrolled: 1-line block ×3, first 2 shown]
	v_fma_f64 v[152:153], v[4:5], s[26:27], -v[10:11]
	v_fma_f64 v[4:5], v[4:5], s[26:27], v[10:11]
	v_add_f64 v[10:11], v[118:119], -v[122:123]
	v_fma_f64 v[154:155], v[6:7], s[26:27], v[8:9]
	v_fma_f64 v[150:151], v[6:7], s[0:1], v[148:149]
	v_fma_f64 v[148:149], v[6:7], s[0:1], -v[148:149]
	v_add_f64 v[152:153], v[152:153], v[160:161]
	v_add_f64 v[0:1], v[4:5], v[0:1]
	v_fma_f64 v[4:5], v[6:7], s[26:27], -v[8:9]
	v_add_f64 v[8:9], v[116:117], -v[120:121]
	v_add_f64 v[6:7], v[118:119], v[122:123]
	v_add_f64 v[148:149], v[148:149], v[156:157]
	;; [unrolled: 1-line block ×4, first 2 shown]
	v_add_f64 v[156:157], v[82:83], -v[86:87]
	v_add_f64 v[2:3], v[4:5], v[2:3]
	v_add_f64 v[4:5], v[116:117], v[120:121]
	v_mul_f64 v[116:117], v[10:11], s[44:45]
	s_delay_alu instid0(VALU_DEP_1) | instskip(SKIP_1) | instid1(VALU_DEP_2)
	v_fma_f64 v[118:119], v[4:5], s[0:1], -v[116:117]
	v_fma_f64 v[116:117], v[4:5], s[0:1], v[116:117]
	v_add_f64 v[14:15], v[118:119], v[14:15]
	v_mul_f64 v[118:119], v[8:9], s[44:45]
	s_delay_alu instid0(VALU_DEP_3) | instskip(NEXT) | instid1(VALU_DEP_2)
	v_add_f64 v[12:13], v[116:117], v[12:13]
	v_fma_f64 v[116:117], v[6:7], s[0:1], -v[118:119]
	v_fma_f64 v[120:121], v[6:7], s[0:1], v[118:119]
	s_delay_alu instid0(VALU_DEP_2) | instskip(SKIP_1) | instid1(VALU_DEP_3)
	v_add_f64 v[16:17], v[116:117], v[16:17]
	v_mul_f64 v[116:117], v[10:11], s[40:41]
	v_add_f64 v[18:19], v[120:121], v[18:19]
	s_delay_alu instid0(VALU_DEP_2) | instskip(SKIP_1) | instid1(VALU_DEP_2)
	v_fma_f64 v[118:119], v[4:5], s[38:39], -v[116:117]
	v_fma_f64 v[116:117], v[4:5], s[38:39], v[116:117]
	v_add_f64 v[22:23], v[118:119], v[22:23]
	v_mul_f64 v[118:119], v[8:9], s[40:41]
	s_delay_alu instid0(VALU_DEP_3) | instskip(NEXT) | instid1(VALU_DEP_2)
	v_add_f64 v[20:21], v[116:117], v[20:21]
	v_fma_f64 v[116:117], v[6:7], s[38:39], -v[118:119]
	v_fma_f64 v[120:121], v[6:7], s[38:39], v[118:119]
	s_delay_alu instid0(VALU_DEP_2) | instskip(SKIP_1) | instid1(VALU_DEP_3)
	v_add_f64 v[24:25], v[116:117], v[24:25]
	v_mul_f64 v[116:117], v[10:11], s[50:51]
	v_add_f64 v[26:27], v[120:121], v[26:27]
	s_delay_alu instid0(VALU_DEP_2) | instskip(SKIP_1) | instid1(VALU_DEP_2)
	v_fma_f64 v[118:119], v[4:5], s[2:3], -v[116:117]
	v_fma_f64 v[116:117], v[4:5], s[2:3], v[116:117]
	v_add_f64 v[106:107], v[118:119], v[106:107]
	v_mul_f64 v[118:119], v[8:9], s[50:51]
	s_delay_alu instid0(VALU_DEP_3) | instskip(NEXT) | instid1(VALU_DEP_2)
	v_add_f64 v[104:105], v[116:117], v[104:105]
	v_fma_f64 v[116:117], v[6:7], s[2:3], -v[118:119]
	v_fma_f64 v[120:121], v[6:7], s[2:3], v[118:119]
	s_delay_alu instid0(VALU_DEP_2) | instskip(SKIP_1) | instid1(VALU_DEP_3)
	v_add_f64 v[108:109], v[116:117], v[108:109]
	v_mul_f64 v[116:117], v[10:11], s[36:37]
	v_add_f64 v[120:121], v[120:121], v[124:125]
	v_mul_f64 v[124:125], v[8:9], s[52:53]
	s_delay_alu instid0(VALU_DEP_3) | instskip(SKIP_1) | instid1(VALU_DEP_2)
	v_fma_f64 v[118:119], v[4:5], s[30:31], -v[116:117]
	v_fma_f64 v[116:117], v[4:5], s[30:31], v[116:117]
	v_add_f64 v[114:115], v[118:119], v[114:115]
	v_mul_f64 v[118:119], v[8:9], s[36:37]
	s_delay_alu instid0(VALU_DEP_3) | instskip(NEXT) | instid1(VALU_DEP_2)
	v_add_f64 v[110:111], v[116:117], v[110:111]
	v_fma_f64 v[116:117], v[6:7], s[30:31], -v[118:119]
	v_fma_f64 v[122:123], v[6:7], s[30:31], v[118:119]
	s_delay_alu instid0(VALU_DEP_2) | instskip(SKIP_1) | instid1(VALU_DEP_3)
	v_add_f64 v[112:113], v[116:117], v[112:113]
	v_mul_f64 v[116:117], v[10:11], s[52:53]
	v_add_f64 v[122:123], v[122:123], v[128:129]
	v_fma_f64 v[128:129], v[6:7], s[16:17], v[124:125]
	v_fma_f64 v[124:125], v[6:7], s[16:17], -v[124:125]
	s_delay_alu instid0(VALU_DEP_4) | instskip(SKIP_1) | instid1(VALU_DEP_4)
	v_fma_f64 v[118:119], v[4:5], s[16:17], -v[116:117]
	v_fma_f64 v[116:117], v[4:5], s[16:17], v[116:117]
	v_add_f64 v[128:129], v[128:129], v[134:135]
	s_delay_alu instid0(VALU_DEP_4) | instskip(SKIP_4) | instid1(VALU_DEP_4)
	v_add_f64 v[124:125], v[124:125], v[132:133]
	v_mul_f64 v[132:133], v[8:9], s[28:29]
	v_add_f64 v[118:119], v[118:119], v[130:131]
	v_add_f64 v[116:117], v[116:117], v[126:127]
	v_mul_f64 v[126:127], v[10:11], s[28:29]
	v_fma_f64 v[134:135], v[6:7], s[26:27], v[132:133]
	v_fma_f64 v[132:133], v[6:7], s[26:27], -v[132:133]
	s_delay_alu instid0(VALU_DEP_3) | instskip(SKIP_1) | instid1(VALU_DEP_4)
	v_fma_f64 v[130:131], v[4:5], s[26:27], -v[126:127]
	v_fma_f64 v[126:127], v[4:5], s[26:27], v[126:127]
	v_add_f64 v[134:135], v[134:135], v[142:143]
	s_delay_alu instid0(VALU_DEP_4)
	v_add_f64 v[132:133], v[132:133], v[140:141]
	v_mul_f64 v[140:141], v[8:9], s[48:49]
	v_mul_f64 v[8:9], v[8:9], s[34:35]
	v_add_f64 v[130:131], v[130:131], v[138:139]
	v_add_f64 v[126:127], v[126:127], v[136:137]
	v_mul_f64 v[136:137], v[10:11], s[48:49]
	v_mul_f64 v[10:11], v[10:11], s[34:35]
	v_fma_f64 v[142:143], v[6:7], s[18:19], v[140:141]
	v_fma_f64 v[140:141], v[6:7], s[18:19], -v[140:141]
	s_delay_alu instid0(VALU_DEP_4) | instskip(SKIP_1) | instid1(VALU_DEP_4)
	v_fma_f64 v[138:139], v[4:5], s[18:19], -v[136:137]
	v_fma_f64 v[136:137], v[4:5], s[18:19], v[136:137]
	v_add_f64 v[142:143], v[142:143], v[150:151]
	s_delay_alu instid0(VALU_DEP_4) | instskip(NEXT) | instid1(VALU_DEP_4)
	v_add_f64 v[140:141], v[140:141], v[148:149]
	v_add_f64 v[138:139], v[138:139], v[146:147]
	s_delay_alu instid0(VALU_DEP_4) | instskip(SKIP_4) | instid1(VALU_DEP_4)
	v_add_f64 v[136:137], v[136:137], v[144:145]
	v_fma_f64 v[144:145], v[4:5], s[24:25], -v[10:11]
	v_fma_f64 v[4:5], v[4:5], s[24:25], v[10:11]
	v_add_f64 v[10:11], v[98:99], -v[102:103]
	v_fma_f64 v[146:147], v[6:7], s[24:25], v[8:9]
	v_add_f64 v[144:145], v[144:145], v[152:153]
	s_delay_alu instid0(VALU_DEP_4)
	v_add_f64 v[0:1], v[4:5], v[0:1]
	v_fma_f64 v[4:5], v[6:7], s[24:25], -v[8:9]
	v_add_f64 v[8:9], v[96:97], -v[100:101]
	v_add_f64 v[6:7], v[98:99], v[102:103]
	v_add_f64 v[146:147], v[146:147], v[154:155]
	v_add_f64 v[154:155], v[80:81], -v[84:85]
	v_add_f64 v[2:3], v[4:5], v[2:3]
	v_add_f64 v[4:5], v[96:97], v[100:101]
	v_mul_f64 v[96:97], v[10:11], s[8:9]
	s_delay_alu instid0(VALU_DEP_1) | instskip(SKIP_1) | instid1(VALU_DEP_2)
	v_fma_f64 v[98:99], v[4:5], s[2:3], -v[96:97]
	v_fma_f64 v[96:97], v[4:5], s[2:3], v[96:97]
	v_add_f64 v[14:15], v[98:99], v[14:15]
	v_mul_f64 v[98:99], v[8:9], s[8:9]
	s_delay_alu instid0(VALU_DEP_3) | instskip(NEXT) | instid1(VALU_DEP_2)
	v_add_f64 v[12:13], v[96:97], v[12:13]
	v_fma_f64 v[96:97], v[6:7], s[2:3], -v[98:99]
	v_fma_f64 v[100:101], v[6:7], s[2:3], v[98:99]
	s_delay_alu instid0(VALU_DEP_2) | instskip(SKIP_1) | instid1(VALU_DEP_3)
	v_add_f64 v[16:17], v[96:97], v[16:17]
	v_mul_f64 v[96:97], v[10:11], s[54:55]
	v_add_f64 v[18:19], v[100:101], v[18:19]
	s_delay_alu instid0(VALU_DEP_2) | instskip(SKIP_1) | instid1(VALU_DEP_2)
	v_fma_f64 v[98:99], v[4:5], s[26:27], -v[96:97]
	v_fma_f64 v[96:97], v[4:5], s[26:27], v[96:97]
	v_add_f64 v[22:23], v[98:99], v[22:23]
	v_mul_f64 v[98:99], v[8:9], s[54:55]
	s_delay_alu instid0(VALU_DEP_3) | instskip(NEXT) | instid1(VALU_DEP_2)
	v_add_f64 v[20:21], v[96:97], v[20:21]
	v_fma_f64 v[96:97], v[6:7], s[26:27], -v[98:99]
	v_fma_f64 v[100:101], v[6:7], s[26:27], v[98:99]
	s_delay_alu instid0(VALU_DEP_2) | instskip(SKIP_1) | instid1(VALU_DEP_3)
	v_add_f64 v[24:25], v[96:97], v[24:25]
	v_mul_f64 v[96:97], v[10:11], s[34:35]
	v_add_f64 v[26:27], v[100:101], v[26:27]
	v_mul_f64 v[100:101], v[8:9], s[34:35]
	s_delay_alu instid0(VALU_DEP_3) | instskip(SKIP_1) | instid1(VALU_DEP_3)
	v_fma_f64 v[98:99], v[4:5], s[24:25], -v[96:97]
	v_fma_f64 v[96:97], v[4:5], s[24:25], v[96:97]
	v_fma_f64 v[102:103], v[6:7], s[24:25], v[100:101]
	v_fma_f64 v[100:101], v[6:7], s[24:25], -v[100:101]
	s_delay_alu instid0(VALU_DEP_4) | instskip(NEXT) | instid1(VALU_DEP_4)
	v_add_f64 v[98:99], v[98:99], v[106:107]
	v_add_f64 v[96:97], v[96:97], v[104:105]
	v_mul_f64 v[104:105], v[10:11], s[52:53]
	s_delay_alu instid0(VALU_DEP_4) | instskip(SKIP_2) | instid1(VALU_DEP_4)
	v_add_f64 v[100:101], v[100:101], v[108:109]
	v_mul_f64 v[108:109], v[8:9], s[52:53]
	v_add_f64 v[102:103], v[102:103], v[120:121]
	v_fma_f64 v[106:107], v[4:5], s[16:17], -v[104:105]
	v_fma_f64 v[104:105], v[4:5], s[16:17], v[104:105]
	s_delay_alu instid0(VALU_DEP_2) | instskip(SKIP_1) | instid1(VALU_DEP_3)
	v_add_f64 v[106:107], v[106:107], v[114:115]
	v_fma_f64 v[114:115], v[6:7], s[16:17], v[108:109]
	v_add_f64 v[104:105], v[104:105], v[110:111]
	v_fma_f64 v[108:109], v[6:7], s[16:17], -v[108:109]
	v_mul_f64 v[110:111], v[10:11], s[40:41]
	s_delay_alu instid0(VALU_DEP_4) | instskip(NEXT) | instid1(VALU_DEP_3)
	v_add_f64 v[114:115], v[114:115], v[122:123]
	v_add_f64 v[108:109], v[108:109], v[112:113]
	s_delay_alu instid0(VALU_DEP_3) | instskip(SKIP_1) | instid1(VALU_DEP_2)
	v_fma_f64 v[112:113], v[4:5], s[38:39], -v[110:111]
	v_fma_f64 v[110:111], v[4:5], s[38:39], v[110:111]
	v_add_f64 v[112:113], v[112:113], v[118:119]
	v_mul_f64 v[118:119], v[8:9], s[40:41]
	s_delay_alu instid0(VALU_DEP_3) | instskip(NEXT) | instid1(VALU_DEP_2)
	v_add_f64 v[110:111], v[110:111], v[116:117]
	v_fma_f64 v[120:121], v[6:7], s[38:39], v[118:119]
	v_fma_f64 v[116:117], v[6:7], s[38:39], -v[118:119]
	v_mul_f64 v[118:119], v[10:11], s[14:15]
	s_delay_alu instid0(VALU_DEP_3) | instskip(NEXT) | instid1(VALU_DEP_3)
	v_add_f64 v[120:121], v[120:121], v[128:129]
	v_add_f64 v[116:117], v[116:117], v[124:125]
	s_delay_alu instid0(VALU_DEP_3) | instskip(SKIP_2) | instid1(VALU_DEP_3)
	v_fma_f64 v[122:123], v[4:5], s[0:1], -v[118:119]
	v_fma_f64 v[118:119], v[4:5], s[0:1], v[118:119]
	v_mul_f64 v[124:125], v[8:9], s[14:15]
	v_add_f64 v[122:123], v[122:123], v[130:131]
	s_delay_alu instid0(VALU_DEP_3) | instskip(SKIP_1) | instid1(VALU_DEP_4)
	v_add_f64 v[118:119], v[118:119], v[126:127]
	v_mul_f64 v[126:127], v[10:11], s[42:43]
	v_fma_f64 v[128:129], v[6:7], s[0:1], v[124:125]
	v_fma_f64 v[124:125], v[6:7], s[0:1], -v[124:125]
	v_mul_f64 v[10:11], v[10:11], s[22:23]
	s_delay_alu instid0(VALU_DEP_4) | instskip(SKIP_1) | instid1(VALU_DEP_4)
	v_fma_f64 v[130:131], v[4:5], s[30:31], -v[126:127]
	v_fma_f64 v[126:127], v[4:5], s[30:31], v[126:127]
	v_add_f64 v[124:125], v[124:125], v[132:133]
	v_mul_f64 v[132:133], v[8:9], s[42:43]
	v_mul_f64 v[8:9], v[8:9], s[22:23]
	v_add_f64 v[128:129], v[128:129], v[134:135]
	v_add_f64 v[130:131], v[130:131], v[138:139]
	;; [unrolled: 1-line block ×3, first 2 shown]
	v_fma_f64 v[136:137], v[4:5], s[18:19], -v[10:11]
	v_fma_f64 v[4:5], v[4:5], s[18:19], v[10:11]
	v_add_f64 v[10:11], v[90:91], -v[94:95]
	v_fma_f64 v[138:139], v[6:7], s[18:19], v[8:9]
	v_fma_f64 v[134:135], v[6:7], s[30:31], v[132:133]
	v_fma_f64 v[132:133], v[6:7], s[30:31], -v[132:133]
	v_add_f64 v[136:137], v[136:137], v[144:145]
	v_add_f64 v[0:1], v[4:5], v[0:1]
	v_fma_f64 v[4:5], v[6:7], s[18:19], -v[8:9]
	v_add_f64 v[8:9], v[88:89], -v[92:93]
	v_add_f64 v[6:7], v[90:91], v[94:95]
	v_add_f64 v[132:133], v[132:133], v[140:141]
	v_add_f64 v[134:135], v[134:135], v[142:143]
	v_add_f64 v[138:139], v[138:139], v[146:147]
	v_add_f64 v[2:3], v[4:5], v[2:3]
	v_add_f64 v[4:5], v[88:89], v[92:93]
	v_mul_f64 v[88:89], v[10:11], s[22:23]
	s_delay_alu instid0(VALU_DEP_1) | instskip(SKIP_1) | instid1(VALU_DEP_2)
	v_fma_f64 v[90:91], v[4:5], s[18:19], -v[88:89]
	v_fma_f64 v[88:89], v[4:5], s[18:19], v[88:89]
	v_add_f64 v[14:15], v[90:91], v[14:15]
	v_mul_f64 v[90:91], v[8:9], s[22:23]
	s_delay_alu instid0(VALU_DEP_3) | instskip(NEXT) | instid1(VALU_DEP_2)
	v_add_f64 v[12:13], v[88:89], v[12:13]
	v_fma_f64 v[88:89], v[6:7], s[18:19], -v[90:91]
	v_fma_f64 v[92:93], v[6:7], s[18:19], v[90:91]
	s_delay_alu instid0(VALU_DEP_2) | instskip(SKIP_1) | instid1(VALU_DEP_3)
	v_add_f64 v[16:17], v[88:89], v[16:17]
	v_mul_f64 v[88:89], v[10:11], s[50:51]
	v_add_f64 v[18:19], v[92:93], v[18:19]
	s_delay_alu instid0(VALU_DEP_2) | instskip(SKIP_1) | instid1(VALU_DEP_2)
	v_fma_f64 v[90:91], v[4:5], s[2:3], -v[88:89]
	v_fma_f64 v[88:89], v[4:5], s[2:3], v[88:89]
	v_add_f64 v[22:23], v[90:91], v[22:23]
	v_mul_f64 v[90:91], v[8:9], s[50:51]
	s_delay_alu instid0(VALU_DEP_3) | instskip(NEXT) | instid1(VALU_DEP_2)
	v_add_f64 v[20:21], v[88:89], v[20:21]
	v_fma_f64 v[88:89], v[6:7], s[2:3], -v[90:91]
	v_fma_f64 v[92:93], v[6:7], s[2:3], v[90:91]
	s_delay_alu instid0(VALU_DEP_2) | instskip(SKIP_1) | instid1(VALU_DEP_3)
	v_add_f64 v[24:25], v[88:89], v[24:25]
	v_mul_f64 v[88:89], v[10:11], s[42:43]
	v_add_f64 v[26:27], v[92:93], v[26:27]
	v_mul_f64 v[92:93], v[8:9], s[42:43]
	s_delay_alu instid0(VALU_DEP_3) | instskip(SKIP_1) | instid1(VALU_DEP_3)
	v_fma_f64 v[90:91], v[4:5], s[30:31], -v[88:89]
	v_fma_f64 v[88:89], v[4:5], s[30:31], v[88:89]
	v_fma_f64 v[94:95], v[6:7], s[30:31], v[92:93]
	s_delay_alu instid0(VALU_DEP_3) | instskip(NEXT) | instid1(VALU_DEP_3)
	v_add_f64 v[90:91], v[90:91], v[98:99]
	v_add_f64 v[96:97], v[88:89], v[96:97]
	v_fma_f64 v[88:89], v[6:7], s[30:31], -v[92:93]
	s_delay_alu instid0(VALU_DEP_4) | instskip(NEXT) | instid1(VALU_DEP_2)
	v_add_f64 v[94:95], v[94:95], v[102:103]
	v_add_f64 v[98:99], v[88:89], v[100:101]
	v_mul_f64 v[88:89], v[10:11], s[28:29]
	s_delay_alu instid0(VALU_DEP_1) | instskip(SKIP_1) | instid1(VALU_DEP_2)
	v_fma_f64 v[92:93], v[4:5], s[26:27], -v[88:89]
	v_fma_f64 v[88:89], v[4:5], s[26:27], v[88:89]
	v_add_f64 v[100:101], v[92:93], v[106:107]
	v_mul_f64 v[92:93], v[8:9], s[28:29]
	s_delay_alu instid0(VALU_DEP_3) | instskip(NEXT) | instid1(VALU_DEP_2)
	v_add_f64 v[104:105], v[88:89], v[104:105]
	v_fma_f64 v[88:89], v[6:7], s[26:27], -v[92:93]
	v_fma_f64 v[102:103], v[6:7], s[26:27], v[92:93]
	s_delay_alu instid0(VALU_DEP_2) | instskip(SKIP_1) | instid1(VALU_DEP_3)
	v_add_f64 v[106:107], v[88:89], v[108:109]
	v_mul_f64 v[88:89], v[10:11], s[14:15]
	v_add_f64 v[102:103], v[102:103], v[114:115]
	s_delay_alu instid0(VALU_DEP_2) | instskip(SKIP_1) | instid1(VALU_DEP_2)
	v_fma_f64 v[92:93], v[4:5], s[0:1], -v[88:89]
	v_fma_f64 v[88:89], v[4:5], s[0:1], v[88:89]
	v_add_f64 v[108:109], v[92:93], v[112:113]
	v_mul_f64 v[92:93], v[8:9], s[14:15]
	s_delay_alu instid0(VALU_DEP_3) | instskip(NEXT) | instid1(VALU_DEP_2)
	v_add_f64 v[110:111], v[88:89], v[110:111]
	v_fma_f64 v[88:89], v[6:7], s[0:1], -v[92:93]
	v_fma_f64 v[112:113], v[6:7], s[0:1], v[92:93]
	s_delay_alu instid0(VALU_DEP_2) | instskip(SKIP_1) | instid1(VALU_DEP_3)
	v_add_f64 v[114:115], v[88:89], v[116:117]
	v_mul_f64 v[88:89], v[10:11], s[46:47]
	v_add_f64 v[112:113], v[112:113], v[120:121]
	s_delay_alu instid0(VALU_DEP_2) | instskip(SKIP_1) | instid1(VALU_DEP_2)
	v_fma_f64 v[92:93], v[4:5], s[24:25], -v[88:89]
	v_fma_f64 v[88:89], v[4:5], s[24:25], v[88:89]
	v_add_f64 v[116:117], v[92:93], v[122:123]
	v_mul_f64 v[92:93], v[8:9], s[46:47]
	s_delay_alu instid0(VALU_DEP_3) | instskip(NEXT) | instid1(VALU_DEP_2)
	v_add_f64 v[118:119], v[88:89], v[118:119]
	v_fma_f64 v[88:89], v[6:7], s[24:25], -v[92:93]
	v_fma_f64 v[120:121], v[6:7], s[24:25], v[92:93]
	s_delay_alu instid0(VALU_DEP_2) | instskip(SKIP_2) | instid1(VALU_DEP_4)
	v_add_f64 v[140:141], v[88:89], v[124:125]
	v_mul_f64 v[88:89], v[10:11], s[40:41]
	v_mul_f64 v[10:11], v[10:11], s[20:21]
	v_add_f64 v[122:123], v[120:121], v[128:129]
	s_delay_alu instid0(VALU_DEP_3) | instskip(SKIP_1) | instid1(VALU_DEP_2)
	v_fma_f64 v[92:93], v[4:5], s[38:39], -v[88:89]
	v_fma_f64 v[88:89], v[4:5], s[38:39], v[88:89]
	v_add_f64 v[142:143], v[92:93], v[130:131]
	v_mul_f64 v[92:93], v[8:9], s[40:41]
	s_delay_alu instid0(VALU_DEP_3) | instskip(SKIP_1) | instid1(VALU_DEP_3)
	v_add_f64 v[146:147], v[88:89], v[126:127]
	v_mul_f64 v[8:9], v[8:9], s[20:21]
	v_fma_f64 v[88:89], v[6:7], s[38:39], -v[92:93]
	v_fma_f64 v[120:121], v[6:7], s[38:39], v[92:93]
	s_delay_alu instid0(VALU_DEP_2) | instskip(SKIP_4) | instid1(VALU_DEP_4)
	v_add_f64 v[148:149], v[88:89], v[132:133]
	v_fma_f64 v[88:89], v[4:5], s[16:17], -v[10:11]
	v_fma_f64 v[4:5], v[4:5], s[16:17], v[10:11]
	v_add_f64 v[10:11], v[82:83], v[86:87]
	v_add_f64 v[144:145], v[120:121], v[134:135]
	;; [unrolled: 1-line block ×3, first 2 shown]
	v_fma_f64 v[88:89], v[6:7], s[16:17], v[8:9]
	v_add_f64 v[4:5], v[4:5], v[0:1]
	v_fma_f64 v[0:1], v[6:7], s[16:17], -v[8:9]
	v_add_f64 v[8:9], v[80:81], v[84:85]
	v_mul_f64 v[80:81], v[156:157], s[28:29]
	v_add_f64 v[152:153], v[88:89], v[138:139]
	s_delay_alu instid0(VALU_DEP_4) | instskip(NEXT) | instid1(VALU_DEP_3)
	v_add_f64 v[6:7], v[0:1], v[2:3]
	v_fma_f64 v[0:1], v[8:9], s[26:27], -v[80:81]
	s_delay_alu instid0(VALU_DEP_1) | instskip(SKIP_1) | instid1(VALU_DEP_1)
	v_add_f64 v[0:1], v[0:1], v[14:15]
	v_mul_f64 v[14:15], v[154:155], s[28:29]
	v_fma_f64 v[2:3], v[10:11], s[26:27], v[14:15]
	s_delay_alu instid0(VALU_DEP_1) | instskip(SKIP_1) | instid1(VALU_DEP_1)
	v_add_f64 v[2:3], v[2:3], v[18:19]
	v_fma_f64 v[18:19], v[8:9], s[26:27], v[80:81]
	v_add_f64 v[136:137], v[18:19], v[12:13]
	v_fma_f64 v[12:13], v[10:11], s[26:27], -v[14:15]
	s_delay_alu instid0(VALU_DEP_1) | instskip(SKIP_1) | instid1(VALU_DEP_1)
	v_add_f64 v[138:139], v[12:13], v[16:17]
	v_mul_f64 v[12:13], v[156:157], s[20:21]
	v_fma_f64 v[14:15], v[8:9], s[16:17], -v[12:13]
	v_fma_f64 v[12:13], v[8:9], s[16:17], v[12:13]
	s_delay_alu instid0(VALU_DEP_2) | instskip(SKIP_1) | instid1(VALU_DEP_3)
	v_add_f64 v[80:81], v[14:15], v[22:23]
	v_mul_f64 v[14:15], v[154:155], s[20:21]
	v_add_f64 v[84:85], v[12:13], v[20:21]
	s_delay_alu instid0(VALU_DEP_2) | instskip(SKIP_1) | instid1(VALU_DEP_2)
	v_fma_f64 v[12:13], v[10:11], s[16:17], -v[14:15]
	v_fma_f64 v[16:17], v[10:11], s[16:17], v[14:15]
	v_add_f64 v[86:87], v[12:13], v[24:25]
	v_mul_f64 v[12:13], v[156:157], s[44:45]
	s_delay_alu instid0(VALU_DEP_3) | instskip(NEXT) | instid1(VALU_DEP_2)
	v_add_f64 v[82:83], v[16:17], v[26:27]
	v_fma_f64 v[14:15], v[8:9], s[0:1], -v[12:13]
	v_fma_f64 v[12:13], v[8:9], s[0:1], v[12:13]
	s_delay_alu instid0(VALU_DEP_2) | instskip(SKIP_1) | instid1(VALU_DEP_3)
	v_add_f64 v[88:89], v[14:15], v[90:91]
	v_mul_f64 v[14:15], v[154:155], s[44:45]
	v_add_f64 v[92:93], v[12:13], v[96:97]
	s_delay_alu instid0(VALU_DEP_2) | instskip(SKIP_1) | instid1(VALU_DEP_2)
	v_fma_f64 v[16:17], v[10:11], s[0:1], v[14:15]
	v_fma_f64 v[12:13], v[10:11], s[0:1], -v[14:15]
	v_add_f64 v[90:91], v[16:17], v[94:95]
	s_delay_alu instid0(VALU_DEP_2) | instskip(SKIP_1) | instid1(VALU_DEP_1)
	v_add_f64 v[94:95], v[12:13], v[98:99]
	v_mul_f64 v[12:13], v[156:157], s[48:49]
	v_fma_f64 v[14:15], v[8:9], s[18:19], -v[12:13]
	v_fma_f64 v[12:13], v[8:9], s[18:19], v[12:13]
	s_delay_alu instid0(VALU_DEP_2) | instskip(SKIP_1) | instid1(VALU_DEP_3)
	v_add_f64 v[96:97], v[14:15], v[100:101]
	v_mul_f64 v[14:15], v[154:155], s[48:49]
	v_add_f64 v[134:135], v[12:13], v[104:105]
	s_delay_alu instid0(VALU_DEP_2) | instskip(SKIP_1) | instid1(VALU_DEP_2)
	v_fma_f64 v[12:13], v[10:11], s[18:19], -v[14:15]
	v_fma_f64 v[16:17], v[10:11], s[18:19], v[14:15]
	v_add_f64 v[132:133], v[12:13], v[106:107]
	v_mul_f64 v[12:13], v[156:157], s[42:43]
	s_delay_alu instid0(VALU_DEP_3) | instskip(NEXT) | instid1(VALU_DEP_2)
	v_add_f64 v[98:99], v[16:17], v[102:103]
	v_fma_f64 v[14:15], v[8:9], s[30:31], -v[12:13]
	v_fma_f64 v[12:13], v[8:9], s[30:31], v[12:13]
	s_delay_alu instid0(VALU_DEP_2) | instskip(SKIP_1) | instid1(VALU_DEP_3)
	v_add_f64 v[128:129], v[14:15], v[108:109]
	v_mul_f64 v[14:15], v[154:155], s[42:43]
	v_add_f64 v[126:127], v[12:13], v[110:111]
	s_delay_alu instid0(VALU_DEP_2) | instskip(SKIP_1) | instid1(VALU_DEP_2)
	v_fma_f64 v[12:13], v[10:11], s[30:31], -v[14:15]
	v_fma_f64 v[16:17], v[10:11], s[30:31], v[14:15]
	v_add_f64 v[124:125], v[12:13], v[114:115]
	v_mul_f64 v[12:13], v[156:157], s[40:41]
	s_delay_alu instid0(VALU_DEP_3) | instskip(NEXT) | instid1(VALU_DEP_2)
	v_add_f64 v[130:131], v[16:17], v[112:113]
	v_fma_f64 v[14:15], v[8:9], s[38:39], -v[12:13]
	v_fma_f64 v[12:13], v[8:9], s[38:39], v[12:13]
	s_delay_alu instid0(VALU_DEP_2) | instskip(SKIP_1) | instid1(VALU_DEP_3)
	v_add_f64 v[120:121], v[14:15], v[116:117]
	v_mul_f64 v[14:15], v[154:155], s[40:41]
	v_add_f64 v[118:119], v[12:13], v[118:119]
	s_delay_alu instid0(VALU_DEP_2) | instskip(SKIP_1) | instid1(VALU_DEP_2)
	v_fma_f64 v[12:13], v[10:11], s[38:39], -v[14:15]
	v_fma_f64 v[16:17], v[10:11], s[38:39], v[14:15]
	v_add_f64 v[116:117], v[12:13], v[140:141]
	v_mul_f64 v[12:13], v[156:157], s[34:35]
	s_delay_alu instid0(VALU_DEP_3) | instskip(SKIP_1) | instid1(VALU_DEP_3)
	v_add_f64 v[122:123], v[16:17], v[122:123]
	v_add_f64 v[140:141], v[74:75], v[78:79]
	v_fma_f64 v[14:15], v[8:9], s[24:25], -v[12:13]
	v_fma_f64 v[12:13], v[8:9], s[24:25], v[12:13]
	s_delay_alu instid0(VALU_DEP_2) | instskip(SKIP_1) | instid1(VALU_DEP_3)
	v_add_f64 v[112:113], v[14:15], v[142:143]
	v_mul_f64 v[14:15], v[154:155], s[34:35]
	v_add_f64 v[110:111], v[12:13], v[146:147]
	v_add_f64 v[146:147], v[74:75], -v[78:79]
	v_add_f64 v[142:143], v[72:73], v[76:77]
	s_delay_alu instid0(VALU_DEP_4) | instskip(SKIP_1) | instid1(VALU_DEP_2)
	v_fma_f64 v[12:13], v[10:11], s[24:25], -v[14:15]
	v_fma_f64 v[16:17], v[10:11], s[24:25], v[14:15]
	v_add_f64 v[108:109], v[12:13], v[148:149]
	v_mul_f64 v[12:13], v[156:157], s[8:9]
	s_delay_alu instid0(VALU_DEP_3) | instskip(SKIP_1) | instid1(VALU_DEP_3)
	v_add_f64 v[114:115], v[16:17], v[144:145]
	v_add_f64 v[144:145], v[72:73], -v[76:77]
	v_fma_f64 v[14:15], v[8:9], s[2:3], -v[12:13]
	v_fma_f64 v[8:9], v[8:9], s[2:3], v[12:13]
	s_delay_alu instid0(VALU_DEP_2) | instskip(SKIP_1) | instid1(VALU_DEP_3)
	v_add_f64 v[106:107], v[14:15], v[150:151]
	v_mul_f64 v[14:15], v[154:155], s[8:9]
	v_add_f64 v[102:103], v[8:9], v[4:5]
	s_delay_alu instid0(VALU_DEP_2) | instskip(SKIP_1) | instid1(VALU_DEP_2)
	v_fma_f64 v[4:5], v[10:11], s[2:3], -v[14:15]
	v_fma_f64 v[16:17], v[10:11], s[2:3], v[14:15]
	v_add_f64 v[100:101], v[4:5], v[6:7]
	v_mul_f64 v[4:5], v[146:147], s[40:41]
	s_delay_alu instid0(VALU_DEP_3) | instskip(NEXT) | instid1(VALU_DEP_2)
	v_add_f64 v[104:105], v[16:17], v[152:153]
	v_fma_f64 v[6:7], v[142:143], s[38:39], -v[4:5]
	s_delay_alu instid0(VALU_DEP_1) | instskip(SKIP_1) | instid1(VALU_DEP_1)
	v_add_f64 v[76:77], v[6:7], v[0:1]
	v_mul_f64 v[0:1], v[144:145], s[40:41]
	v_fma_f64 v[6:7], v[140:141], s[38:39], v[0:1]
	v_fma_f64 v[0:1], v[140:141], s[38:39], -v[0:1]
	s_delay_alu instid0(VALU_DEP_2) | instskip(SKIP_1) | instid1(VALU_DEP_3)
	v_add_f64 v[78:79], v[6:7], v[2:3]
	v_fma_f64 v[2:3], v[142:143], s[38:39], v[4:5]
	v_add_f64 v[74:75], v[0:1], v[138:139]
	v_mul_f64 v[0:1], v[146:147], s[36:37]
	s_delay_alu instid0(VALU_DEP_3) | instskip(NEXT) | instid1(VALU_DEP_2)
	v_add_f64 v[72:73], v[2:3], v[136:137]
	v_fma_f64 v[2:3], v[142:143], s[30:31], -v[0:1]
	v_fma_f64 v[0:1], v[142:143], s[30:31], v[0:1]
	s_delay_alu instid0(VALU_DEP_2) | instskip(SKIP_1) | instid1(VALU_DEP_3)
	v_add_f64 v[80:81], v[2:3], v[80:81]
	v_mul_f64 v[2:3], v[144:145], s[36:37]
	v_add_f64 v[84:85], v[0:1], v[84:85]
	s_delay_alu instid0(VALU_DEP_2) | instskip(SKIP_1) | instid1(VALU_DEP_2)
	v_fma_f64 v[0:1], v[140:141], s[30:31], -v[2:3]
	v_fma_f64 v[4:5], v[140:141], s[30:31], v[2:3]
	v_add_f64 v[86:87], v[0:1], v[86:87]
	v_mul_f64 v[0:1], v[146:147], s[28:29]
	s_delay_alu instid0(VALU_DEP_3) | instskip(NEXT) | instid1(VALU_DEP_2)
	v_add_f64 v[82:83], v[4:5], v[82:83]
	v_fma_f64 v[2:3], v[142:143], s[26:27], -v[0:1]
	v_fma_f64 v[0:1], v[142:143], s[26:27], v[0:1]
	s_delay_alu instid0(VALU_DEP_2) | instskip(SKIP_1) | instid1(VALU_DEP_3)
	v_add_f64 v[88:89], v[2:3], v[88:89]
	v_mul_f64 v[2:3], v[144:145], s[28:29]
	v_add_f64 v[92:93], v[0:1], v[92:93]
	s_delay_alu instid0(VALU_DEP_2) | instskip(SKIP_1) | instid1(VALU_DEP_2)
	v_fma_f64 v[0:1], v[140:141], s[26:27], -v[2:3]
	v_fma_f64 v[4:5], v[140:141], s[26:27], v[2:3]
	v_add_f64 v[94:95], v[0:1], v[94:95]
	v_mul_f64 v[0:1], v[146:147], s[34:35]
	s_delay_alu instid0(VALU_DEP_3) | instskip(NEXT) | instid1(VALU_DEP_2)
	v_add_f64 v[90:91], v[4:5], v[90:91]
	v_fma_f64 v[2:3], v[142:143], s[24:25], -v[0:1]
	v_fma_f64 v[0:1], v[142:143], s[24:25], v[0:1]
	s_delay_alu instid0(VALU_DEP_2) | instskip(SKIP_1) | instid1(VALU_DEP_3)
	v_add_f64 v[96:97], v[2:3], v[96:97]
	v_mul_f64 v[2:3], v[144:145], s[34:35]
	v_add_f64 v[0:1], v[0:1], v[134:135]
	s_delay_alu instid0(VALU_DEP_2) | instskip(SKIP_1) | instid1(VALU_DEP_2)
	v_fma_f64 v[4:5], v[140:141], s[24:25], v[2:3]
	v_fma_f64 v[2:3], v[140:141], s[24:25], -v[2:3]
	v_add_f64 v[98:99], v[4:5], v[98:99]
	v_mul_f64 v[4:5], v[146:147], s[22:23]
	s_delay_alu instid0(VALU_DEP_3) | instskip(NEXT) | instid1(VALU_DEP_2)
	v_add_f64 v[2:3], v[2:3], v[132:133]
	v_fma_f64 v[6:7], v[142:143], s[18:19], -v[4:5]
	v_fma_f64 v[4:5], v[142:143], s[18:19], v[4:5]
	s_delay_alu instid0(VALU_DEP_2) | instskip(SKIP_1) | instid1(VALU_DEP_3)
	v_add_f64 v[128:129], v[6:7], v[128:129]
	v_mul_f64 v[6:7], v[144:145], s[22:23]
	v_add_f64 v[132:133], v[4:5], v[126:127]
	s_delay_alu instid0(VALU_DEP_2) | instskip(SKIP_1) | instid1(VALU_DEP_2)
	v_fma_f64 v[4:5], v[140:141], s[18:19], -v[6:7]
	v_fma_f64 v[8:9], v[140:141], s[18:19], v[6:7]
	v_add_f64 v[134:135], v[4:5], v[124:125]
	v_mul_f64 v[4:5], v[146:147], s[20:21]
	s_delay_alu instid0(VALU_DEP_3) | instskip(NEXT) | instid1(VALU_DEP_2)
	v_add_f64 v[130:131], v[8:9], v[130:131]
	v_fma_f64 v[6:7], v[142:143], s[16:17], -v[4:5]
	v_fma_f64 v[4:5], v[142:143], s[16:17], v[4:5]
	s_delay_alu instid0(VALU_DEP_2) | instskip(SKIP_1) | instid1(VALU_DEP_3)
	v_add_f64 v[120:121], v[6:7], v[120:121]
	v_mul_f64 v[6:7], v[144:145], s[20:21]
	v_add_f64 v[124:125], v[4:5], v[118:119]
	s_delay_alu instid0(VALU_DEP_2) | instskip(SKIP_1) | instid1(VALU_DEP_2)
	v_fma_f64 v[4:5], v[140:141], s[16:17], -v[6:7]
	v_fma_f64 v[8:9], v[140:141], s[16:17], v[6:7]
	;; [unrolled: 13-line block ×3, first 2 shown]
	v_add_f64 v[118:119], v[4:5], v[108:109]
	v_mul_f64 v[4:5], v[146:147], s[14:15]
	s_delay_alu instid0(VALU_DEP_3) | instskip(NEXT) | instid1(VALU_DEP_2)
	v_add_f64 v[114:115], v[8:9], v[114:115]
	v_fma_f64 v[6:7], v[142:143], s[0:1], -v[4:5]
	v_fma_f64 v[4:5], v[142:143], s[0:1], v[4:5]
	s_delay_alu instid0(VALU_DEP_2) | instskip(SKIP_1) | instid1(VALU_DEP_3)
	v_add_f64 v[106:107], v[6:7], v[106:107]
	v_mul_f64 v[6:7], v[144:145], s[14:15]
	v_add_f64 v[102:103], v[4:5], v[102:103]
	s_delay_alu instid0(VALU_DEP_2) | instskip(SKIP_1) | instid1(VALU_DEP_2)
	v_fma_f64 v[8:9], v[140:141], s[0:1], v[6:7]
	v_fma_f64 v[4:5], v[140:141], s[0:1], -v[6:7]
	v_add_f64 v[108:109], v[8:9], v[104:105]
	s_delay_alu instid0(VALU_DEP_2) | instskip(SKIP_1) | instid1(VALU_DEP_1)
	v_add_f64 v[104:105], v[4:5], v[100:101]
	v_mul_lo_u16 v4, v208, 17
	v_and_b32_e32 v4, 0xffff, v4
	s_delay_alu instid0(VALU_DEP_1)
	v_lshlrev_b32_e32 v247, 4, v4
	v_and_b32_e32 v4, 0xff, v208
	ds_store_b128 v247, v[68:71]
	ds_store_b128 v247, v[76:79] offset:16
	ds_store_b128 v247, v[80:83] offset:32
	;; [unrolled: 1-line block ×16, first 2 shown]
	v_mul_lo_u16 v4, 0xf1, v4
	s_waitcnt lgkmcnt(0)
	s_barrier
	buffer_gl0_inv
	ds_load_b128 v[136:139], v246
	ds_load_b128 v[0:3], v246 offset:1632
	ds_load_b128 v[68:71], v246 offset:3264
	;; [unrolled: 1-line block ×16, first 2 shown]
	v_lshrrev_b16 v209, 12, v4
	s_delay_alu instid0(VALU_DEP_1) | instskip(NEXT) | instid1(VALU_DEP_1)
	v_mul_lo_u16 v4, v209, 17
	v_sub_nc_u16 v4, v208, v4
	s_delay_alu instid0(VALU_DEP_1) | instskip(NEXT) | instid1(VALU_DEP_1)
	v_and_b32_e32 v210, 0xff, v4
	v_lshlrev_b32_e32 v10, 8, v210
	s_clause 0x3
	global_load_b128 v[72:75], v10, s[10:11] offset:48
	global_load_b128 v[76:79], v10, s[10:11] offset:32
	;; [unrolled: 1-line block ×3, first 2 shown]
	global_load_b128 v[96:99], v10, s[10:11]
	s_waitcnt vmcnt(0) lgkmcnt(15)
	v_mul_f64 v[4:5], v[2:3], v[98:99]
	s_delay_alu instid0(VALU_DEP_1) | instskip(SKIP_1) | instid1(VALU_DEP_2)
	v_fma_f64 v[4:5], v[0:1], v[96:97], -v[4:5]
	v_mul_f64 v[0:1], v[0:1], v[98:99]
	v_add_f64 v[12:13], v[136:137], v[4:5]
	s_delay_alu instid0(VALU_DEP_2) | instskip(SKIP_2) | instid1(VALU_DEP_2)
	v_fma_f64 v[6:7], v[2:3], v[96:97], v[0:1]
	s_waitcnt lgkmcnt(14)
	v_mul_f64 v[0:1], v[70:71], v[82:83]
	v_add_f64 v[14:15], v[138:139], v[6:7]
	s_delay_alu instid0(VALU_DEP_2) | instskip(SKIP_1) | instid1(VALU_DEP_2)
	v_fma_f64 v[192:193], v[68:69], v[80:81], -v[0:1]
	v_mul_f64 v[0:1], v[68:69], v[82:83]
	v_add_f64 v[12:13], v[12:13], v[192:193]
	s_delay_alu instid0(VALU_DEP_2) | instskip(SKIP_2) | instid1(VALU_DEP_2)
	v_fma_f64 v[190:191], v[70:71], v[80:81], v[0:1]
	s_waitcnt lgkmcnt(13)
	v_mul_f64 v[0:1], v[86:87], v[78:79]
	v_add_f64 v[14:15], v[14:15], v[190:191]
	s_delay_alu instid0(VALU_DEP_2) | instskip(SKIP_1) | instid1(VALU_DEP_2)
	;; [unrolled: 9-line block ×3, first 2 shown]
	v_fma_f64 v[182:183], v[88:89], v[72:73], -v[0:1]
	v_mul_f64 v[0:1], v[88:89], v[74:75]
	v_add_f64 v[12:13], v[12:13], v[182:183]
	s_delay_alu instid0(VALU_DEP_2)
	v_fma_f64 v[180:181], v[90:91], v[72:73], v[0:1]
	s_clause 0x3
	global_load_b128 v[84:87], v10, s[10:11] offset:112
	global_load_b128 v[88:91], v10, s[10:11] offset:96
	;; [unrolled: 1-line block ×4, first 2 shown]
	v_add_f64 v[14:15], v[14:15], v[180:181]
	s_waitcnt vmcnt(3) lgkmcnt(8)
	v_mul_f64 v[2:3], v[118:119], v[86:87]
	s_waitcnt vmcnt(0)
	v_mul_f64 v[0:1], v[94:95], v[110:111]
	s_delay_alu instid0(VALU_DEP_2) | instskip(SKIP_1) | instid1(VALU_DEP_3)
	v_fma_f64 v[156:157], v[116:117], v[84:85], -v[2:3]
	v_mul_f64 v[2:3], v[116:117], v[86:87]
	v_fma_f64 v[176:177], v[92:93], v[108:109], -v[0:1]
	v_mul_f64 v[0:1], v[92:93], v[110:111]
	s_delay_alu instid0(VALU_DEP_3) | instskip(NEXT) | instid1(VALU_DEP_3)
	v_fma_f64 v[152:153], v[118:119], v[84:85], v[2:3]
	v_add_f64 v[12:13], v[12:13], v[176:177]
	s_delay_alu instid0(VALU_DEP_3) | instskip(SKIP_1) | instid1(VALU_DEP_2)
	v_fma_f64 v[172:173], v[94:95], v[108:109], v[0:1]
	v_mul_f64 v[0:1], v[106:107], v[102:103]
	v_add_f64 v[14:15], v[14:15], v[172:173]
	s_delay_alu instid0(VALU_DEP_2) | instskip(SKIP_1) | instid1(VALU_DEP_2)
	v_fma_f64 v[168:169], v[104:105], v[100:101], -v[0:1]
	v_mul_f64 v[0:1], v[104:105], v[102:103]
	v_add_f64 v[12:13], v[12:13], v[168:169]
	s_delay_alu instid0(VALU_DEP_2) | instskip(SKIP_1) | instid1(VALU_DEP_2)
	v_fma_f64 v[164:165], v[106:107], v[100:101], v[0:1]
	v_mul_f64 v[0:1], v[114:115], v[90:91]
	v_add_f64 v[14:15], v[14:15], v[164:165]
	s_delay_alu instid0(VALU_DEP_2) | instskip(SKIP_1) | instid1(VALU_DEP_2)
	v_fma_f64 v[160:161], v[112:113], v[88:89], -v[0:1]
	v_mul_f64 v[0:1], v[112:113], v[90:91]
	v_add_f64 v[12:13], v[12:13], v[160:161]
	s_delay_alu instid0(VALU_DEP_2)
	v_fma_f64 v[0:1], v[114:115], v[88:89], v[0:1]
	s_clause 0x3
	global_load_b128 v[92:95], v10, s[10:11] offset:176
	global_load_b128 v[104:107], v10, s[10:11] offset:160
	global_load_b128 v[112:115], v10, s[10:11] offset:144
	global_load_b128 v[120:123], v10, s[10:11] offset:128
	v_add_f64 v[12:13], v[12:13], v[156:157]
	v_add_f64 v[14:15], v[14:15], v[0:1]
	s_delay_alu instid0(VALU_DEP_1) | instskip(SKIP_4) | instid1(VALU_DEP_2)
	v_add_f64 v[14:15], v[14:15], v[152:153]
	s_waitcnt vmcnt(2) lgkmcnt(5)
	v_mul_f64 v[8:9], v[196:197], v[106:107]
	s_waitcnt vmcnt(0)
	v_mul_f64 v[2:3], v[126:127], v[122:123]
	v_fma_f64 v[170:171], v[194:195], v[104:105], -v[8:9]
	v_mul_f64 v[8:9], v[194:195], v[106:107]
	s_delay_alu instid0(VALU_DEP_3) | instskip(SKIP_1) | instid1(VALU_DEP_3)
	v_fma_f64 v[158:159], v[124:125], v[120:121], -v[2:3]
	v_mul_f64 v[2:3], v[124:125], v[122:123]
	v_fma_f64 v[166:167], v[196:197], v[104:105], v[8:9]
	s_waitcnt lgkmcnt(4)
	v_mul_f64 v[8:9], v[200:201], v[94:95]
	s_delay_alu instid0(VALU_DEP_3) | instskip(SKIP_2) | instid1(VALU_DEP_4)
	v_fma_f64 v[154:155], v[126:127], v[120:121], v[2:3]
	v_mul_f64 v[2:3], v[130:131], v[114:115]
	v_add_f64 v[12:13], v[12:13], v[158:159]
	v_fma_f64 v[178:179], v[198:199], v[92:93], -v[8:9]
	v_mul_f64 v[8:9], v[198:199], v[94:95]
	s_delay_alu instid0(VALU_DEP_4) | instskip(SKIP_2) | instid1(VALU_DEP_4)
	v_fma_f64 v[162:163], v[128:129], v[112:113], -v[2:3]
	v_mul_f64 v[2:3], v[128:129], v[114:115]
	v_add_f64 v[14:15], v[14:15], v[154:155]
	v_fma_f64 v[174:175], v[200:201], v[92:93], v[8:9]
	s_delay_alu instid0(VALU_DEP_4) | instskip(NEXT) | instid1(VALU_DEP_4)
	v_add_f64 v[12:13], v[12:13], v[162:163]
	v_fma_f64 v[2:3], v[130:131], v[112:113], v[2:3]
	s_clause 0x3
	global_load_b128 v[68:71], v10, s[10:11] offset:240
	global_load_b128 v[116:119], v10, s[10:11] offset:224
	;; [unrolled: 1-line block ×4, first 2 shown]
	s_waitcnt vmcnt(0) lgkmcnt(0)
	s_barrier
	buffer_gl0_inv
	v_add_f64 v[12:13], v[12:13], v[170:171]
	v_add_f64 v[14:15], v[14:15], v[2:3]
	s_delay_alu instid0(VALU_DEP_2) | instskip(NEXT) | instid1(VALU_DEP_2)
	v_add_f64 v[12:13], v[12:13], v[178:179]
	v_add_f64 v[14:15], v[14:15], v[166:167]
	s_delay_alu instid0(VALU_DEP_1) | instskip(SKIP_2) | instid1(VALU_DEP_2)
	v_add_f64 v[14:15], v[14:15], v[174:175]
	v_mul_f64 v[10:11], v[132:133], v[70:71]
	v_mul_f64 v[8:9], v[150:151], v[130:131]
	v_fma_f64 v[10:11], v[134:135], v[68:69], v[10:11]
	s_delay_alu instid0(VALU_DEP_2) | instskip(SKIP_1) | instid1(VALU_DEP_2)
	v_fma_f64 v[186:187], v[148:149], v[128:129], -v[8:9]
	v_mul_f64 v[8:9], v[148:149], v[130:131]
	v_add_f64 v[12:13], v[12:13], v[186:187]
	s_delay_alu instid0(VALU_DEP_2) | instskip(SKIP_1) | instid1(VALU_DEP_2)
	v_fma_f64 v[148:149], v[150:151], v[128:129], v[8:9]
	v_mul_f64 v[8:9], v[146:147], v[126:127]
	v_add_f64 v[14:15], v[14:15], v[148:149]
	s_delay_alu instid0(VALU_DEP_2) | instskip(SKIP_1) | instid1(VALU_DEP_2)
	v_fma_f64 v[150:151], v[144:145], v[124:125], -v[8:9]
	v_mul_f64 v[8:9], v[144:145], v[126:127]
	v_add_f64 v[12:13], v[12:13], v[150:151]
	s_delay_alu instid0(VALU_DEP_2) | instskip(SKIP_1) | instid1(VALU_DEP_2)
	v_fma_f64 v[144:145], v[146:147], v[124:125], v[8:9]
	v_mul_f64 v[8:9], v[142:143], v[118:119]
	v_add_f64 v[14:15], v[14:15], v[144:145]
	;; [unrolled: 8-line block ×3, first 2 shown]
	s_delay_alu instid0(VALU_DEP_2) | instskip(NEXT) | instid1(VALU_DEP_2)
	v_fma_f64 v[8:9], v[132:133], v[68:69], -v[8:9]
	v_add_f64 v[134:135], v[14:15], v[10:11]
	s_delay_alu instid0(VALU_DEP_2) | instskip(SKIP_4) | instid1(VALU_DEP_3)
	v_add_f64 v[132:133], v[12:13], v[8:9]
	v_add_f64 v[12:13], v[4:5], v[8:9]
	v_add_f64 v[4:5], v[4:5], -v[8:9]
	v_add_f64 v[14:15], v[6:7], v[10:11]
	v_add_f64 v[6:7], v[6:7], -v[10:11]
	v_mul_f64 v[16:17], v[4:5], s[42:43]
	v_mul_f64 v[24:25], v[4:5], s[46:47]
	;; [unrolled: 1-line block ×16, first 2 shown]
	v_fma_f64 v[18:19], v[14:15], s[30:31], v[16:17]
	v_fma_f64 v[16:17], v[14:15], s[30:31], -v[16:17]
	v_fma_f64 v[26:27], v[14:15], s[24:25], v[24:25]
	v_fma_f64 v[24:25], v[14:15], s[24:25], -v[24:25]
	;; [unrolled: 2-line block ×8, first 2 shown]
	v_fma_f64 v[10:11], v[12:13], s[30:31], -v[8:9]
	v_fma_f64 v[8:9], v[12:13], s[30:31], v[8:9]
	v_fma_f64 v[22:23], v[12:13], s[24:25], -v[20:21]
	v_fma_f64 v[20:21], v[12:13], s[24:25], v[20:21]
	;; [unrolled: 2-line block ×8, first 2 shown]
	v_add_f64 v[12:13], v[192:193], v[146:147]
	v_add_f64 v[14:15], v[190:191], v[140:141]
	;; [unrolled: 1-line block ×18, first 2 shown]
	v_add_f64 v[138:139], v[190:191], -v[140:141]
	v_add_f64 v[10:11], v[136:137], v[10:11]
	v_add_f64 v[8:9], v[136:137], v[8:9]
	v_add_f64 v[22:23], v[136:137], v[22:23]
	v_add_f64 v[20:21], v[136:137], v[20:21]
	v_add_f64 v[194:195], v[136:137], v[194:195]
	v_add_f64 v[142:143], v[136:137], v[142:143]
	v_add_f64 v[202:203], v[136:137], v[202:203]
	v_add_f64 v[200:201], v[136:137], v[200:201]
	v_add_f64 v[216:217], v[136:137], v[216:217]
	v_add_f64 v[214:215], v[136:137], v[214:215]
	v_add_f64 v[224:225], v[136:137], v[224:225]
	v_add_f64 v[222:223], v[136:137], v[222:223]
	v_add_f64 v[232:233], v[136:137], v[232:233]
	v_add_f64 v[230:231], v[136:137], v[230:231]
	v_add_f64 v[238:239], v[136:137], v[238:239]
	v_add_f64 v[6:7], v[136:137], v[6:7]
	v_add_f64 v[136:137], v[192:193], -v[146:147]
	v_mul_f64 v[140:141], v[138:139], s[46:47]
	s_delay_alu instid0(VALU_DEP_1) | instskip(SKIP_1) | instid1(VALU_DEP_2)
	v_fma_f64 v[146:147], v[12:13], s[24:25], -v[140:141]
	v_fma_f64 v[140:141], v[12:13], s[24:25], v[140:141]
	v_add_f64 v[10:11], v[146:147], v[10:11]
	v_mul_f64 v[146:147], v[136:137], s[46:47]
	s_delay_alu instid0(VALU_DEP_3) | instskip(NEXT) | instid1(VALU_DEP_2)
	v_add_f64 v[8:9], v[140:141], v[8:9]
	v_fma_f64 v[140:141], v[14:15], s[24:25], -v[146:147]
	v_fma_f64 v[190:191], v[14:15], s[24:25], v[146:147]
	s_delay_alu instid0(VALU_DEP_2) | instskip(SKIP_1) | instid1(VALU_DEP_3)
	v_add_f64 v[16:17], v[140:141], v[16:17]
	v_mul_f64 v[140:141], v[138:139], s[44:45]
	v_add_f64 v[18:19], v[190:191], v[18:19]
	s_delay_alu instid0(VALU_DEP_2) | instskip(SKIP_1) | instid1(VALU_DEP_2)
	v_fma_f64 v[146:147], v[12:13], s[0:1], -v[140:141]
	v_fma_f64 v[140:141], v[12:13], s[0:1], v[140:141]
	v_add_f64 v[22:23], v[146:147], v[22:23]
	v_mul_f64 v[146:147], v[136:137], s[44:45]
	s_delay_alu instid0(VALU_DEP_3) | instskip(NEXT) | instid1(VALU_DEP_2)
	v_add_f64 v[20:21], v[140:141], v[20:21]
	v_fma_f64 v[140:141], v[14:15], s[0:1], -v[146:147]
	v_fma_f64 v[190:191], v[14:15], s[0:1], v[146:147]
	s_delay_alu instid0(VALU_DEP_2) | instskip(SKIP_1) | instid1(VALU_DEP_3)
	v_add_f64 v[24:25], v[140:141], v[24:25]
	v_mul_f64 v[140:141], v[138:139], s[22:23]
	v_add_f64 v[26:27], v[190:191], v[26:27]
	v_mul_f64 v[190:191], v[136:137], s[22:23]
	s_delay_alu instid0(VALU_DEP_3) | instskip(SKIP_1) | instid1(VALU_DEP_3)
	v_fma_f64 v[146:147], v[12:13], s[18:19], -v[140:141]
	v_fma_f64 v[140:141], v[12:13], s[18:19], v[140:141]
	v_fma_f64 v[192:193], v[14:15], s[18:19], v[190:191]
	s_delay_alu instid0(VALU_DEP_3) | instskip(NEXT) | instid1(VALU_DEP_3)
	v_add_f64 v[146:147], v[146:147], v[194:195]
	v_add_f64 v[140:141], v[140:141], v[142:143]
	v_fma_f64 v[142:143], v[14:15], s[18:19], -v[190:191]
	v_mul_f64 v[190:191], v[138:139], s[40:41]
	v_add_f64 v[192:193], v[192:193], v[198:199]
	s_delay_alu instid0(VALU_DEP_3) | instskip(NEXT) | instid1(VALU_DEP_3)
	v_add_f64 v[142:143], v[142:143], v[196:197]
	v_fma_f64 v[194:195], v[12:13], s[38:39], -v[190:191]
	v_fma_f64 v[190:191], v[12:13], s[38:39], v[190:191]
	v_mul_f64 v[196:197], v[136:137], s[40:41]
	s_delay_alu instid0(VALU_DEP_3) | instskip(NEXT) | instid1(VALU_DEP_3)
	v_add_f64 v[194:195], v[194:195], v[202:203]
	v_add_f64 v[190:191], v[190:191], v[200:201]
	v_mul_f64 v[200:201], v[138:139], s[54:55]
	s_delay_alu instid0(VALU_DEP_4) | instskip(SKIP_1) | instid1(VALU_DEP_3)
	v_fma_f64 v[198:199], v[14:15], s[38:39], v[196:197]
	v_fma_f64 v[196:197], v[14:15], s[38:39], -v[196:197]
	v_fma_f64 v[202:203], v[12:13], s[26:27], -v[200:201]
	v_fma_f64 v[200:201], v[12:13], s[26:27], v[200:201]
	s_delay_alu instid0(VALU_DEP_3)
	v_add_f64 v[196:197], v[196:197], v[204:205]
	v_mul_f64 v[204:205], v[136:137], s[54:55]
	v_add_f64 v[198:199], v[198:199], v[206:207]
	v_add_f64 v[202:203], v[202:203], v[216:217]
	;; [unrolled: 1-line block ×3, first 2 shown]
	v_mul_f64 v[214:215], v[138:139], s[50:51]
	v_fma_f64 v[206:207], v[14:15], s[26:27], v[204:205]
	v_fma_f64 v[204:205], v[14:15], s[26:27], -v[204:205]
	s_delay_alu instid0(VALU_DEP_3) | instskip(SKIP_1) | instid1(VALU_DEP_3)
	v_fma_f64 v[216:217], v[12:13], s[2:3], -v[214:215]
	v_fma_f64 v[214:215], v[12:13], s[2:3], v[214:215]
	v_add_f64 v[204:205], v[204:205], v[218:219]
	v_mul_f64 v[218:219], v[136:137], s[50:51]
	v_add_f64 v[206:207], v[206:207], v[220:221]
	v_add_f64 v[216:217], v[216:217], v[224:225]
	;; [unrolled: 1-line block ×3, first 2 shown]
	v_mul_f64 v[222:223], v[138:139], s[20:21]
	v_fma_f64 v[220:221], v[14:15], s[2:3], v[218:219]
	v_fma_f64 v[218:219], v[14:15], s[2:3], -v[218:219]
	v_mul_f64 v[138:139], v[138:139], s[36:37]
	s_delay_alu instid0(VALU_DEP_4) | instskip(SKIP_1) | instid1(VALU_DEP_4)
	v_fma_f64 v[224:225], v[12:13], s[16:17], -v[222:223]
	v_fma_f64 v[222:223], v[12:13], s[16:17], v[222:223]
	v_add_f64 v[218:219], v[218:219], v[226:227]
	v_mul_f64 v[226:227], v[136:137], s[20:21]
	v_mul_f64 v[136:137], v[136:137], s[36:37]
	v_add_f64 v[220:221], v[220:221], v[228:229]
	v_add_f64 v[224:225], v[224:225], v[232:233]
	;; [unrolled: 1-line block ×3, first 2 shown]
	v_fma_f64 v[230:231], v[12:13], s[30:31], -v[138:139]
	v_fma_f64 v[12:13], v[12:13], s[30:31], v[138:139]
	v_add_f64 v[138:139], v[184:185], -v[144:145]
	v_fma_f64 v[228:229], v[14:15], s[16:17], v[226:227]
	v_fma_f64 v[226:227], v[14:15], s[16:17], -v[226:227]
	v_fma_f64 v[232:233], v[14:15], s[30:31], v[136:137]
	v_add_f64 v[230:231], v[230:231], v[238:239]
	v_add_f64 v[6:7], v[12:13], v[6:7]
	v_fma_f64 v[12:13], v[14:15], s[30:31], -v[136:137]
	v_add_f64 v[14:15], v[184:185], v[144:145]
	v_mul_f64 v[144:145], v[138:139], s[52:53]
	v_add_f64 v[136:137], v[188:189], -v[150:151]
	v_add_f64 v[226:227], v[226:227], v[234:235]
	v_add_f64 v[232:233], v[232:233], v[240:241]
	;; [unrolled: 1-line block ×5, first 2 shown]
	v_mul_f64 v[188:189], v[136:137], s[50:51]
	s_delay_alu instid0(VALU_DEP_2) | instskip(SKIP_1) | instid1(VALU_DEP_2)
	v_fma_f64 v[150:151], v[12:13], s[16:17], -v[144:145]
	v_fma_f64 v[144:145], v[12:13], s[16:17], v[144:145]
	v_add_f64 v[10:11], v[150:151], v[10:11]
	v_mul_f64 v[150:151], v[136:137], s[52:53]
	s_delay_alu instid0(VALU_DEP_3) | instskip(NEXT) | instid1(VALU_DEP_2)
	v_add_f64 v[8:9], v[144:145], v[8:9]
	v_fma_f64 v[144:145], v[14:15], s[16:17], -v[150:151]
	v_fma_f64 v[184:185], v[14:15], s[16:17], v[150:151]
	s_delay_alu instid0(VALU_DEP_2) | instskip(SKIP_1) | instid1(VALU_DEP_3)
	v_add_f64 v[16:17], v[144:145], v[16:17]
	v_mul_f64 v[144:145], v[138:139], s[22:23]
	v_add_f64 v[18:19], v[184:185], v[18:19]
	s_delay_alu instid0(VALU_DEP_2) | instskip(SKIP_1) | instid1(VALU_DEP_2)
	v_fma_f64 v[150:151], v[12:13], s[18:19], -v[144:145]
	v_fma_f64 v[144:145], v[12:13], s[18:19], v[144:145]
	v_add_f64 v[22:23], v[150:151], v[22:23]
	v_mul_f64 v[150:151], v[136:137], s[22:23]
	s_delay_alu instid0(VALU_DEP_3) | instskip(NEXT) | instid1(VALU_DEP_2)
	v_add_f64 v[20:21], v[144:145], v[20:21]
	v_fma_f64 v[144:145], v[14:15], s[18:19], -v[150:151]
	v_fma_f64 v[184:185], v[14:15], s[18:19], v[150:151]
	s_delay_alu instid0(VALU_DEP_2) | instskip(SKIP_1) | instid1(VALU_DEP_3)
	v_add_f64 v[24:25], v[144:145], v[24:25]
	v_mul_f64 v[144:145], v[138:139], s[56:57]
	v_add_f64 v[26:27], v[184:185], v[26:27]
	;; [unrolled: 13-line block ×3, first 2 shown]
	v_fma_f64 v[192:193], v[14:15], s[2:3], v[188:189]
	v_fma_f64 v[188:189], v[14:15], s[2:3], -v[188:189]
	s_delay_alu instid0(VALU_DEP_4) | instskip(SKIP_1) | instid1(VALU_DEP_4)
	v_fma_f64 v[150:151], v[12:13], s[2:3], -v[144:145]
	v_fma_f64 v[144:145], v[12:13], s[2:3], v[144:145]
	v_add_f64 v[192:193], v[192:193], v[198:199]
	s_delay_alu instid0(VALU_DEP_4) | instskip(SKIP_4) | instid1(VALU_DEP_4)
	v_add_f64 v[188:189], v[188:189], v[196:197]
	v_mul_f64 v[196:197], v[136:137], s[34:35]
	v_add_f64 v[150:151], v[150:151], v[194:195]
	v_add_f64 v[144:145], v[144:145], v[190:191]
	v_mul_f64 v[190:191], v[138:139], s[34:35]
	v_fma_f64 v[198:199], v[14:15], s[24:25], v[196:197]
	v_fma_f64 v[196:197], v[14:15], s[24:25], -v[196:197]
	s_delay_alu instid0(VALU_DEP_3) | instskip(SKIP_1) | instid1(VALU_DEP_4)
	v_fma_f64 v[194:195], v[12:13], s[24:25], -v[190:191]
	v_fma_f64 v[190:191], v[12:13], s[24:25], v[190:191]
	v_add_f64 v[198:199], v[198:199], v[206:207]
	s_delay_alu instid0(VALU_DEP_4) | instskip(SKIP_4) | instid1(VALU_DEP_4)
	v_add_f64 v[196:197], v[196:197], v[204:205]
	v_mul_f64 v[204:205], v[136:137], s[42:43]
	v_add_f64 v[194:195], v[194:195], v[202:203]
	v_add_f64 v[190:191], v[190:191], v[200:201]
	v_mul_f64 v[200:201], v[138:139], s[42:43]
	v_fma_f64 v[206:207], v[14:15], s[30:31], v[204:205]
	v_fma_f64 v[204:205], v[14:15], s[30:31], -v[204:205]
	s_delay_alu instid0(VALU_DEP_3) | instskip(SKIP_1) | instid1(VALU_DEP_4)
	v_fma_f64 v[202:203], v[12:13], s[30:31], -v[200:201]
	v_fma_f64 v[200:201], v[12:13], s[30:31], v[200:201]
	v_add_f64 v[206:207], v[206:207], v[220:221]
	s_delay_alu instid0(VALU_DEP_4)
	v_add_f64 v[204:205], v[204:205], v[218:219]
	v_mul_f64 v[218:219], v[136:137], s[44:45]
	v_mul_f64 v[136:137], v[136:137], s[28:29]
	v_add_f64 v[202:203], v[202:203], v[216:217]
	v_add_f64 v[200:201], v[200:201], v[214:215]
	v_mul_f64 v[214:215], v[138:139], s[44:45]
	v_mul_f64 v[138:139], v[138:139], s[28:29]
	v_fma_f64 v[220:221], v[14:15], s[0:1], v[218:219]
	v_fma_f64 v[218:219], v[14:15], s[0:1], -v[218:219]
	s_delay_alu instid0(VALU_DEP_4) | instskip(SKIP_1) | instid1(VALU_DEP_4)
	v_fma_f64 v[216:217], v[12:13], s[0:1], -v[214:215]
	v_fma_f64 v[214:215], v[12:13], s[0:1], v[214:215]
	v_add_f64 v[220:221], v[220:221], v[228:229]
	s_delay_alu instid0(VALU_DEP_4) | instskip(NEXT) | instid1(VALU_DEP_4)
	v_add_f64 v[218:219], v[218:219], v[226:227]
	v_add_f64 v[216:217], v[216:217], v[224:225]
	s_delay_alu instid0(VALU_DEP_4) | instskip(SKIP_4) | instid1(VALU_DEP_4)
	v_add_f64 v[214:215], v[214:215], v[222:223]
	v_fma_f64 v[222:223], v[12:13], s[26:27], -v[138:139]
	v_fma_f64 v[12:13], v[12:13], s[26:27], v[138:139]
	v_add_f64 v[138:139], v[180:181], -v[148:149]
	v_fma_f64 v[224:225], v[14:15], s[26:27], v[136:137]
	v_add_f64 v[222:223], v[222:223], v[230:231]
	s_delay_alu instid0(VALU_DEP_4)
	v_add_f64 v[6:7], v[12:13], v[6:7]
	v_fma_f64 v[12:13], v[14:15], s[26:27], -v[136:137]
	v_add_f64 v[14:15], v[180:181], v[148:149]
	v_mul_f64 v[148:149], v[138:139], s[44:45]
	v_add_f64 v[136:137], v[182:183], -v[186:187]
	v_add_f64 v[224:225], v[224:225], v[232:233]
	v_add_f64 v[4:5], v[12:13], v[4:5]
	;; [unrolled: 1-line block ×3, first 2 shown]
	s_delay_alu instid0(VALU_DEP_1) | instskip(SKIP_1) | instid1(VALU_DEP_2)
	v_fma_f64 v[180:181], v[12:13], s[0:1], -v[148:149]
	v_fma_f64 v[148:149], v[12:13], s[0:1], v[148:149]
	v_add_f64 v[10:11], v[180:181], v[10:11]
	v_mul_f64 v[180:181], v[136:137], s[44:45]
	s_delay_alu instid0(VALU_DEP_3) | instskip(NEXT) | instid1(VALU_DEP_2)
	v_add_f64 v[8:9], v[148:149], v[8:9]
	v_fma_f64 v[148:149], v[14:15], s[0:1], -v[180:181]
	v_fma_f64 v[182:183], v[14:15], s[0:1], v[180:181]
	s_delay_alu instid0(VALU_DEP_2) | instskip(SKIP_1) | instid1(VALU_DEP_3)
	v_add_f64 v[16:17], v[148:149], v[16:17]
	v_mul_f64 v[148:149], v[138:139], s[40:41]
	v_add_f64 v[18:19], v[182:183], v[18:19]
	s_delay_alu instid0(VALU_DEP_2) | instskip(SKIP_1) | instid1(VALU_DEP_2)
	v_fma_f64 v[180:181], v[12:13], s[38:39], -v[148:149]
	v_fma_f64 v[148:149], v[12:13], s[38:39], v[148:149]
	v_add_f64 v[22:23], v[180:181], v[22:23]
	v_mul_f64 v[180:181], v[136:137], s[40:41]
	s_delay_alu instid0(VALU_DEP_3) | instskip(NEXT) | instid1(VALU_DEP_2)
	v_add_f64 v[20:21], v[148:149], v[20:21]
	v_fma_f64 v[148:149], v[14:15], s[38:39], -v[180:181]
	v_fma_f64 v[182:183], v[14:15], s[38:39], v[180:181]
	s_delay_alu instid0(VALU_DEP_2) | instskip(SKIP_1) | instid1(VALU_DEP_3)
	v_add_f64 v[24:25], v[148:149], v[24:25]
	v_mul_f64 v[148:149], v[138:139], s[50:51]
	v_add_f64 v[26:27], v[182:183], v[26:27]
	s_delay_alu instid0(VALU_DEP_2) | instskip(SKIP_1) | instid1(VALU_DEP_2)
	;; [unrolled: 13-line block ×3, first 2 shown]
	v_fma_f64 v[180:181], v[12:13], s[30:31], -v[148:149]
	v_fma_f64 v[148:149], v[12:13], s[30:31], v[148:149]
	v_add_f64 v[150:151], v[180:181], v[150:151]
	v_mul_f64 v[180:181], v[136:137], s[36:37]
	s_delay_alu instid0(VALU_DEP_3) | instskip(NEXT) | instid1(VALU_DEP_2)
	v_add_f64 v[144:145], v[148:149], v[144:145]
	v_fma_f64 v[184:185], v[14:15], s[30:31], v[180:181]
	v_fma_f64 v[148:149], v[14:15], s[30:31], -v[180:181]
	v_mul_f64 v[180:181], v[138:139], s[52:53]
	s_delay_alu instid0(VALU_DEP_3) | instskip(NEXT) | instid1(VALU_DEP_3)
	v_add_f64 v[184:185], v[184:185], v[192:193]
	v_add_f64 v[148:149], v[148:149], v[188:189]
	s_delay_alu instid0(VALU_DEP_3) | instskip(SKIP_2) | instid1(VALU_DEP_3)
	v_fma_f64 v[186:187], v[12:13], s[16:17], -v[180:181]
	v_fma_f64 v[180:181], v[12:13], s[16:17], v[180:181]
	v_mul_f64 v[188:189], v[136:137], s[52:53]
	v_add_f64 v[186:187], v[186:187], v[194:195]
	s_delay_alu instid0(VALU_DEP_3) | instskip(SKIP_1) | instid1(VALU_DEP_4)
	v_add_f64 v[180:181], v[180:181], v[190:191]
	v_mul_f64 v[190:191], v[138:139], s[28:29]
	v_fma_f64 v[192:193], v[14:15], s[16:17], v[188:189]
	v_fma_f64 v[188:189], v[14:15], s[16:17], -v[188:189]
	s_delay_alu instid0(VALU_DEP_3) | instskip(SKIP_1) | instid1(VALU_DEP_3)
	v_fma_f64 v[194:195], v[12:13], s[26:27], -v[190:191]
	v_fma_f64 v[190:191], v[12:13], s[26:27], v[190:191]
	v_add_f64 v[188:189], v[188:189], v[196:197]
	v_mul_f64 v[196:197], v[136:137], s[28:29]
	v_add_f64 v[192:193], v[192:193], v[198:199]
	v_add_f64 v[194:195], v[194:195], v[202:203]
	;; [unrolled: 1-line block ×3, first 2 shown]
	v_mul_f64 v[200:201], v[138:139], s[48:49]
	v_fma_f64 v[198:199], v[14:15], s[26:27], v[196:197]
	v_fma_f64 v[196:197], v[14:15], s[26:27], -v[196:197]
	v_mul_f64 v[138:139], v[138:139], s[34:35]
	s_delay_alu instid0(VALU_DEP_4) | instskip(SKIP_1) | instid1(VALU_DEP_4)
	v_fma_f64 v[202:203], v[12:13], s[18:19], -v[200:201]
	v_fma_f64 v[200:201], v[12:13], s[18:19], v[200:201]
	v_add_f64 v[196:197], v[196:197], v[204:205]
	v_mul_f64 v[204:205], v[136:137], s[48:49]
	v_mul_f64 v[136:137], v[136:137], s[34:35]
	v_add_f64 v[198:199], v[198:199], v[206:207]
	v_add_f64 v[202:203], v[202:203], v[216:217]
	;; [unrolled: 1-line block ×3, first 2 shown]
	v_fma_f64 v[214:215], v[12:13], s[24:25], -v[138:139]
	v_fma_f64 v[12:13], v[12:13], s[24:25], v[138:139]
	v_add_f64 v[138:139], v[172:173], -v[174:175]
	v_fma_f64 v[206:207], v[14:15], s[18:19], v[204:205]
	v_fma_f64 v[204:205], v[14:15], s[18:19], -v[204:205]
	v_fma_f64 v[216:217], v[14:15], s[24:25], v[136:137]
	v_add_f64 v[214:215], v[214:215], v[222:223]
	v_add_f64 v[6:7], v[12:13], v[6:7]
	v_fma_f64 v[12:13], v[14:15], s[24:25], -v[136:137]
	v_add_f64 v[14:15], v[172:173], v[174:175]
	v_mul_f64 v[172:173], v[138:139], s[8:9]
	v_add_f64 v[136:137], v[176:177], -v[178:179]
	v_add_f64 v[204:205], v[204:205], v[218:219]
	v_add_f64 v[216:217], v[216:217], v[224:225]
	;; [unrolled: 1-line block ×5, first 2 shown]
	s_delay_alu instid0(VALU_DEP_1) | instskip(SKIP_1) | instid1(VALU_DEP_2)
	v_fma_f64 v[174:175], v[12:13], s[2:3], -v[172:173]
	v_fma_f64 v[172:173], v[12:13], s[2:3], v[172:173]
	v_add_f64 v[10:11], v[174:175], v[10:11]
	v_mul_f64 v[174:175], v[136:137], s[8:9]
	s_delay_alu instid0(VALU_DEP_3) | instskip(NEXT) | instid1(VALU_DEP_2)
	v_add_f64 v[8:9], v[172:173], v[8:9]
	v_fma_f64 v[172:173], v[14:15], s[2:3], -v[174:175]
	v_fma_f64 v[176:177], v[14:15], s[2:3], v[174:175]
	s_delay_alu instid0(VALU_DEP_2) | instskip(SKIP_1) | instid1(VALU_DEP_3)
	v_add_f64 v[16:17], v[172:173], v[16:17]
	v_mul_f64 v[172:173], v[138:139], s[54:55]
	v_add_f64 v[18:19], v[176:177], v[18:19]
	s_delay_alu instid0(VALU_DEP_2) | instskip(SKIP_1) | instid1(VALU_DEP_2)
	v_fma_f64 v[174:175], v[12:13], s[26:27], -v[172:173]
	v_fma_f64 v[172:173], v[12:13], s[26:27], v[172:173]
	v_add_f64 v[22:23], v[174:175], v[22:23]
	v_mul_f64 v[174:175], v[136:137], s[54:55]
	s_delay_alu instid0(VALU_DEP_3) | instskip(NEXT) | instid1(VALU_DEP_2)
	v_add_f64 v[20:21], v[172:173], v[20:21]
	v_fma_f64 v[172:173], v[14:15], s[26:27], -v[174:175]
	v_fma_f64 v[176:177], v[14:15], s[26:27], v[174:175]
	s_delay_alu instid0(VALU_DEP_2) | instskip(SKIP_1) | instid1(VALU_DEP_3)
	v_add_f64 v[24:25], v[172:173], v[24:25]
	v_mul_f64 v[172:173], v[138:139], s[34:35]
	v_add_f64 v[26:27], v[176:177], v[26:27]
	s_delay_alu instid0(VALU_DEP_2) | instskip(SKIP_1) | instid1(VALU_DEP_2)
	v_fma_f64 v[174:175], v[12:13], s[24:25], -v[172:173]
	v_fma_f64 v[172:173], v[12:13], s[24:25], v[172:173]
	v_add_f64 v[146:147], v[174:175], v[146:147]
	v_mul_f64 v[174:175], v[136:137], s[34:35]
	s_delay_alu instid0(VALU_DEP_3) | instskip(NEXT) | instid1(VALU_DEP_2)
	v_add_f64 v[140:141], v[172:173], v[140:141]
	v_fma_f64 v[172:173], v[14:15], s[24:25], -v[174:175]
	v_fma_f64 v[176:177], v[14:15], s[24:25], v[174:175]
	s_delay_alu instid0(VALU_DEP_2) | instskip(SKIP_1) | instid1(VALU_DEP_3)
	v_add_f64 v[142:143], v[172:173], v[142:143]
	v_mul_f64 v[172:173], v[138:139], s[52:53]
	v_add_f64 v[176:177], v[176:177], v[182:183]
	v_mul_f64 v[182:183], v[136:137], s[40:41]
	s_delay_alu instid0(VALU_DEP_3) | instskip(SKIP_1) | instid1(VALU_DEP_2)
	v_fma_f64 v[174:175], v[12:13], s[16:17], -v[172:173]
	v_fma_f64 v[172:173], v[12:13], s[16:17], v[172:173]
	v_add_f64 v[150:151], v[174:175], v[150:151]
	v_mul_f64 v[174:175], v[136:137], s[52:53]
	s_delay_alu instid0(VALU_DEP_3) | instskip(NEXT) | instid1(VALU_DEP_2)
	v_add_f64 v[144:145], v[172:173], v[144:145]
	v_fma_f64 v[172:173], v[14:15], s[16:17], -v[174:175]
	v_fma_f64 v[178:179], v[14:15], s[16:17], v[174:175]
	s_delay_alu instid0(VALU_DEP_2) | instskip(SKIP_1) | instid1(VALU_DEP_3)
	v_add_f64 v[148:149], v[172:173], v[148:149]
	v_mul_f64 v[172:173], v[138:139], s[40:41]
	v_add_f64 v[178:179], v[178:179], v[184:185]
	v_fma_f64 v[184:185], v[14:15], s[38:39], v[182:183]
	s_delay_alu instid0(VALU_DEP_3) | instskip(SKIP_1) | instid1(VALU_DEP_3)
	v_fma_f64 v[174:175], v[12:13], s[38:39], -v[172:173]
	v_fma_f64 v[172:173], v[12:13], s[38:39], v[172:173]
	v_add_f64 v[184:185], v[184:185], v[192:193]
	s_delay_alu instid0(VALU_DEP_3) | instskip(NEXT) | instid1(VALU_DEP_3)
	v_add_f64 v[174:175], v[174:175], v[186:187]
	v_add_f64 v[172:173], v[172:173], v[180:181]
	v_fma_f64 v[180:181], v[14:15], s[38:39], -v[182:183]
	v_mul_f64 v[182:183], v[138:139], s[14:15]
	s_delay_alu instid0(VALU_DEP_2) | instskip(NEXT) | instid1(VALU_DEP_2)
	v_add_f64 v[180:181], v[180:181], v[188:189]
	v_fma_f64 v[186:187], v[12:13], s[0:1], -v[182:183]
	v_fma_f64 v[182:183], v[12:13], s[0:1], v[182:183]
	v_mul_f64 v[188:189], v[136:137], s[14:15]
	s_delay_alu instid0(VALU_DEP_3) | instskip(NEXT) | instid1(VALU_DEP_3)
	v_add_f64 v[186:187], v[186:187], v[194:195]
	v_add_f64 v[182:183], v[182:183], v[190:191]
	v_mul_f64 v[190:191], v[138:139], s[42:43]
	s_delay_alu instid0(VALU_DEP_4) | instskip(SKIP_2) | instid1(VALU_DEP_4)
	v_fma_f64 v[192:193], v[14:15], s[0:1], v[188:189]
	v_fma_f64 v[188:189], v[14:15], s[0:1], -v[188:189]
	v_mul_f64 v[138:139], v[138:139], s[22:23]
	v_fma_f64 v[194:195], v[12:13], s[30:31], -v[190:191]
	v_fma_f64 v[190:191], v[12:13], s[30:31], v[190:191]
	s_delay_alu instid0(VALU_DEP_4)
	v_add_f64 v[188:189], v[188:189], v[196:197]
	v_mul_f64 v[196:197], v[136:137], s[42:43]
	v_mul_f64 v[136:137], v[136:137], s[22:23]
	v_add_f64 v[192:193], v[192:193], v[198:199]
	v_add_f64 v[194:195], v[194:195], v[202:203]
	;; [unrolled: 1-line block ×3, first 2 shown]
	v_fma_f64 v[200:201], v[12:13], s[18:19], -v[138:139]
	v_fma_f64 v[12:13], v[12:13], s[18:19], v[138:139]
	v_add_f64 v[138:139], v[164:165], -v[166:167]
	v_fma_f64 v[198:199], v[14:15], s[30:31], v[196:197]
	v_fma_f64 v[196:197], v[14:15], s[30:31], -v[196:197]
	v_fma_f64 v[202:203], v[14:15], s[18:19], v[136:137]
	v_add_f64 v[200:201], v[200:201], v[214:215]
	v_add_f64 v[6:7], v[12:13], v[6:7]
	v_fma_f64 v[12:13], v[14:15], s[18:19], -v[136:137]
	v_add_f64 v[14:15], v[164:165], v[166:167]
	v_mul_f64 v[164:165], v[138:139], s[22:23]
	v_add_f64 v[136:137], v[168:169], -v[170:171]
	v_add_f64 v[196:197], v[196:197], v[204:205]
	v_add_f64 v[202:203], v[202:203], v[216:217]
	;; [unrolled: 1-line block ×5, first 2 shown]
	s_delay_alu instid0(VALU_DEP_1) | instskip(SKIP_1) | instid1(VALU_DEP_2)
	v_fma_f64 v[166:167], v[12:13], s[18:19], -v[164:165]
	v_fma_f64 v[164:165], v[12:13], s[18:19], v[164:165]
	v_add_f64 v[10:11], v[166:167], v[10:11]
	v_mul_f64 v[166:167], v[136:137], s[22:23]
	s_delay_alu instid0(VALU_DEP_3) | instskip(NEXT) | instid1(VALU_DEP_2)
	v_add_f64 v[8:9], v[164:165], v[8:9]
	v_fma_f64 v[164:165], v[14:15], s[18:19], -v[166:167]
	v_fma_f64 v[168:169], v[14:15], s[18:19], v[166:167]
	s_delay_alu instid0(VALU_DEP_2) | instskip(SKIP_1) | instid1(VALU_DEP_3)
	v_add_f64 v[16:17], v[164:165], v[16:17]
	v_mul_f64 v[164:165], v[138:139], s[50:51]
	v_add_f64 v[18:19], v[168:169], v[18:19]
	s_delay_alu instid0(VALU_DEP_2) | instskip(SKIP_1) | instid1(VALU_DEP_2)
	v_fma_f64 v[166:167], v[12:13], s[2:3], -v[164:165]
	v_fma_f64 v[164:165], v[12:13], s[2:3], v[164:165]
	v_add_f64 v[22:23], v[166:167], v[22:23]
	v_mul_f64 v[166:167], v[136:137], s[50:51]
	s_delay_alu instid0(VALU_DEP_3) | instskip(NEXT) | instid1(VALU_DEP_2)
	v_add_f64 v[20:21], v[164:165], v[20:21]
	v_fma_f64 v[164:165], v[14:15], s[2:3], -v[166:167]
	v_fma_f64 v[168:169], v[14:15], s[2:3], v[166:167]
	s_delay_alu instid0(VALU_DEP_2) | instskip(SKIP_1) | instid1(VALU_DEP_3)
	v_add_f64 v[24:25], v[164:165], v[24:25]
	v_mul_f64 v[164:165], v[138:139], s[42:43]
	v_add_f64 v[26:27], v[168:169], v[26:27]
	s_delay_alu instid0(VALU_DEP_2) | instskip(SKIP_1) | instid1(VALU_DEP_2)
	;; [unrolled: 13-line block ×4, first 2 shown]
	v_fma_f64 v[166:167], v[12:13], s[0:1], -v[148:149]
	v_fma_f64 v[148:149], v[12:13], s[0:1], v[148:149]
	v_add_f64 v[166:167], v[166:167], v[174:175]
	v_mul_f64 v[174:175], v[136:137], s[14:15]
	s_delay_alu instid0(VALU_DEP_3) | instskip(NEXT) | instid1(VALU_DEP_2)
	v_add_f64 v[172:173], v[148:149], v[172:173]
	v_fma_f64 v[148:149], v[14:15], s[0:1], -v[174:175]
	v_fma_f64 v[176:177], v[14:15], s[0:1], v[174:175]
	s_delay_alu instid0(VALU_DEP_2) | instskip(SKIP_2) | instid1(VALU_DEP_4)
	v_add_f64 v[174:175], v[148:149], v[180:181]
	v_mul_f64 v[148:149], v[138:139], s[46:47]
	v_mul_f64 v[180:181], v[136:137], s[46:47]
	v_add_f64 v[176:177], v[176:177], v[184:185]
	s_delay_alu instid0(VALU_DEP_3) | instskip(SKIP_1) | instid1(VALU_DEP_4)
	v_fma_f64 v[178:179], v[12:13], s[24:25], -v[148:149]
	v_fma_f64 v[148:149], v[12:13], s[24:25], v[148:149]
	v_fma_f64 v[184:185], v[14:15], s[24:25], v[180:181]
	s_delay_alu instid0(VALU_DEP_3) | instskip(NEXT) | instid1(VALU_DEP_3)
	v_add_f64 v[178:179], v[178:179], v[186:187]
	v_add_f64 v[182:183], v[148:149], v[182:183]
	v_fma_f64 v[148:149], v[14:15], s[24:25], -v[180:181]
	s_delay_alu instid0(VALU_DEP_4) | instskip(NEXT) | instid1(VALU_DEP_2)
	v_add_f64 v[184:185], v[184:185], v[192:193]
	v_add_f64 v[180:181], v[148:149], v[188:189]
	v_mul_f64 v[148:149], v[138:139], s[40:41]
	v_mul_f64 v[188:189], v[136:137], s[40:41]
	;; [unrolled: 1-line block ×4, first 2 shown]
	s_delay_alu instid0(VALU_DEP_4) | instskip(SKIP_2) | instid1(VALU_DEP_3)
	v_fma_f64 v[186:187], v[12:13], s[38:39], -v[148:149]
	v_fma_f64 v[148:149], v[12:13], s[38:39], v[148:149]
	v_fma_f64 v[192:193], v[14:15], s[38:39], v[188:189]
	v_add_f64 v[186:187], v[186:187], v[194:195]
	s_delay_alu instid0(VALU_DEP_3) | instskip(SKIP_1) | instid1(VALU_DEP_4)
	v_add_f64 v[190:191], v[148:149], v[190:191]
	v_fma_f64 v[148:149], v[14:15], s[38:39], -v[188:189]
	v_add_f64 v[192:193], v[192:193], v[198:199]
	s_delay_alu instid0(VALU_DEP_2) | instskip(SKIP_2) | instid1(VALU_DEP_2)
	v_add_f64 v[188:189], v[148:149], v[196:197]
	v_fma_f64 v[148:149], v[12:13], s[16:17], -v[138:139]
	v_fma_f64 v[12:13], v[12:13], s[16:17], v[138:139]
	v_add_f64 v[194:195], v[148:149], v[200:201]
	v_fma_f64 v[148:149], v[14:15], s[16:17], v[136:137]
	s_delay_alu instid0(VALU_DEP_3)
	v_add_f64 v[6:7], v[12:13], v[6:7]
	v_fma_f64 v[12:13], v[14:15], s[16:17], -v[136:137]
	v_add_f64 v[14:15], v[0:1], v[2:3]
	v_add_f64 v[0:1], v[0:1], -v[2:3]
	v_add_f64 v[136:137], v[160:161], -v[162:163]
	v_add_f64 v[200:201], v[148:149], v[202:203]
	v_add_f64 v[202:203], v[152:153], -v[154:155]
	v_add_f64 v[4:5], v[12:13], v[4:5]
	v_add_f64 v[12:13], v[160:161], v[162:163]
	v_mul_f64 v[2:3], v[0:1], s[28:29]
	s_delay_alu instid0(VALU_DEP_1) | instskip(SKIP_1) | instid1(VALU_DEP_2)
	v_fma_f64 v[138:139], v[12:13], s[26:27], -v[2:3]
	v_fma_f64 v[2:3], v[12:13], s[26:27], v[2:3]
	v_add_f64 v[10:11], v[138:139], v[10:11]
	v_mul_f64 v[138:139], v[136:137], s[28:29]
	s_delay_alu instid0(VALU_DEP_3) | instskip(NEXT) | instid1(VALU_DEP_2)
	v_add_f64 v[8:9], v[2:3], v[8:9]
	v_fma_f64 v[2:3], v[14:15], s[26:27], -v[138:139]
	v_fma_f64 v[148:149], v[14:15], s[26:27], v[138:139]
	s_delay_alu instid0(VALU_DEP_2) | instskip(SKIP_1) | instid1(VALU_DEP_3)
	v_add_f64 v[16:17], v[2:3], v[16:17]
	v_mul_f64 v[2:3], v[0:1], s[20:21]
	v_add_f64 v[18:19], v[148:149], v[18:19]
	s_delay_alu instid0(VALU_DEP_2) | instskip(SKIP_1) | instid1(VALU_DEP_2)
	v_fma_f64 v[138:139], v[12:13], s[16:17], -v[2:3]
	v_fma_f64 v[2:3], v[12:13], s[16:17], v[2:3]
	v_add_f64 v[22:23], v[138:139], v[22:23]
	v_mul_f64 v[138:139], v[136:137], s[20:21]
	s_delay_alu instid0(VALU_DEP_3) | instskip(NEXT) | instid1(VALU_DEP_2)
	v_add_f64 v[20:21], v[2:3], v[20:21]
	v_fma_f64 v[2:3], v[14:15], s[16:17], -v[138:139]
	v_fma_f64 v[148:149], v[14:15], s[16:17], v[138:139]
	s_delay_alu instid0(VALU_DEP_2) | instskip(SKIP_1) | instid1(VALU_DEP_3)
	v_add_f64 v[24:25], v[2:3], v[24:25]
	v_mul_f64 v[2:3], v[0:1], s[44:45]
	v_add_f64 v[26:27], v[148:149], v[26:27]
	s_delay_alu instid0(VALU_DEP_2) | instskip(SKIP_1) | instid1(VALU_DEP_2)
	;; [unrolled: 13-line block ×5, first 2 shown]
	v_fma_f64 v[138:139], v[12:13], s[38:39], -v[2:3]
	v_fma_f64 v[2:3], v[12:13], s[38:39], v[2:3]
	v_add_f64 v[164:165], v[138:139], v[178:179]
	v_mul_f64 v[138:139], v[136:137], s[40:41]
	s_delay_alu instid0(VALU_DEP_3) | instskip(NEXT) | instid1(VALU_DEP_2)
	v_add_f64 v[168:169], v[2:3], v[182:183]
	v_fma_f64 v[2:3], v[14:15], s[38:39], -v[138:139]
	v_fma_f64 v[140:141], v[14:15], s[38:39], v[138:139]
	s_delay_alu instid0(VALU_DEP_2) | instskip(SKIP_2) | instid1(VALU_DEP_4)
	v_add_f64 v[170:171], v[2:3], v[180:181]
	v_mul_f64 v[2:3], v[0:1], s[34:35]
	v_mul_f64 v[0:1], v[0:1], s[8:9]
	v_add_f64 v[166:167], v[140:141], v[184:185]
	s_delay_alu instid0(VALU_DEP_3) | instskip(SKIP_1) | instid1(VALU_DEP_2)
	v_fma_f64 v[138:139], v[12:13], s[24:25], -v[2:3]
	v_fma_f64 v[2:3], v[12:13], s[24:25], v[2:3]
	v_add_f64 v[172:173], v[138:139], v[186:187]
	v_mul_f64 v[138:139], v[136:137], s[34:35]
	s_delay_alu instid0(VALU_DEP_3) | instskip(SKIP_1) | instid1(VALU_DEP_3)
	v_add_f64 v[180:181], v[2:3], v[190:191]
	v_add_f64 v[186:187], v[156:157], v[158:159]
	v_fma_f64 v[2:3], v[14:15], s[24:25], -v[138:139]
	v_fma_f64 v[140:141], v[14:15], s[24:25], v[138:139]
	s_delay_alu instid0(VALU_DEP_2) | instskip(SKIP_2) | instid1(VALU_DEP_4)
	v_add_f64 v[182:183], v[2:3], v[188:189]
	v_fma_f64 v[2:3], v[12:13], s[2:3], -v[0:1]
	v_fma_f64 v[0:1], v[12:13], s[2:3], v[0:1]
	v_add_f64 v[174:175], v[140:141], v[192:193]
	s_delay_alu instid0(VALU_DEP_3) | instskip(SKIP_1) | instid1(VALU_DEP_4)
	v_add_f64 v[190:191], v[2:3], v[194:195]
	v_mul_f64 v[2:3], v[136:137], s[8:9]
	v_add_f64 v[184:185], v[0:1], v[6:7]
	s_delay_alu instid0(VALU_DEP_2) | instskip(SKIP_2) | instid1(VALU_DEP_3)
	v_fma_f64 v[0:1], v[14:15], s[2:3], -v[2:3]
	v_fma_f64 v[136:137], v[14:15], s[2:3], v[2:3]
	v_add_f64 v[2:3], v[152:153], v[154:155]
	v_add_f64 v[0:1], v[0:1], v[4:5]
	v_mul_f64 v[4:5], v[202:203], s[40:41]
	s_delay_alu instid0(VALU_DEP_4) | instskip(SKIP_1) | instid1(VALU_DEP_3)
	v_add_f64 v[188:189], v[136:137], v[200:201]
	v_add_f64 v[200:201], v[156:157], -v[158:159]
	v_fma_f64 v[6:7], v[186:187], s[38:39], -v[4:5]
	v_fma_f64 v[4:5], v[186:187], s[38:39], v[4:5]
	s_delay_alu instid0(VALU_DEP_2) | instskip(NEXT) | instid1(VALU_DEP_4)
	v_add_f64 v[136:137], v[6:7], v[10:11]
	v_mul_f64 v[6:7], v[200:201], s[40:41]
	s_delay_alu instid0(VALU_DEP_3) | instskip(NEXT) | instid1(VALU_DEP_2)
	v_add_f64 v[192:193], v[4:5], v[8:9]
	v_fma_f64 v[4:5], v[2:3], s[38:39], -v[6:7]
	v_fma_f64 v[10:11], v[2:3], s[38:39], v[6:7]
	s_delay_alu instid0(VALU_DEP_2) | instskip(SKIP_1) | instid1(VALU_DEP_3)
	v_add_f64 v[194:195], v[4:5], v[16:17]
	v_mul_f64 v[4:5], v[202:203], s[36:37]
	v_add_f64 v[138:139], v[10:11], v[18:19]
	s_delay_alu instid0(VALU_DEP_2) | instskip(SKIP_1) | instid1(VALU_DEP_2)
	v_fma_f64 v[6:7], v[186:187], s[30:31], -v[4:5]
	v_fma_f64 v[4:5], v[186:187], s[30:31], v[4:5]
	v_add_f64 v[144:145], v[6:7], v[22:23]
	v_mul_f64 v[6:7], v[200:201], s[36:37]
	s_delay_alu instid0(VALU_DEP_3) | instskip(NEXT) | instid1(VALU_DEP_2)
	v_add_f64 v[140:141], v[4:5], v[20:21]
	v_fma_f64 v[4:5], v[2:3], s[30:31], -v[6:7]
	v_fma_f64 v[8:9], v[2:3], s[30:31], v[6:7]
	s_delay_alu instid0(VALU_DEP_2) | instskip(SKIP_1) | instid1(VALU_DEP_3)
	v_add_f64 v[142:143], v[4:5], v[24:25]
	v_mul_f64 v[4:5], v[202:203], s[28:29]
	v_add_f64 v[146:147], v[8:9], v[26:27]
	s_delay_alu instid0(VALU_DEP_2) | instskip(SKIP_1) | instid1(VALU_DEP_2)
	v_fma_f64 v[6:7], v[186:187], s[26:27], -v[4:5]
	v_fma_f64 v[4:5], v[186:187], s[26:27], v[4:5]
	;; [unrolled: 13-line block ×7, first 2 shown]
	v_add_f64 v[202:203], v[6:7], v[190:191]
	v_mul_f64 v[6:7], v[200:201], s[14:15]
	s_delay_alu instid0(VALU_DEP_3) | instskip(NEXT) | instid1(VALU_DEP_2)
	v_add_f64 v[184:185], v[4:5], v[184:185]
	v_fma_f64 v[8:9], v[2:3], s[0:1], v[6:7]
	v_fma_f64 v[2:3], v[2:3], s[0:1], -v[6:7]
	s_delay_alu instid0(VALU_DEP_2) | instskip(NEXT) | instid1(VALU_DEP_2)
	v_add_f64 v[204:205], v[8:9], v[188:189]
	v_add_f64 v[186:187], v[2:3], v[0:1]
	v_and_b32_e32 v0, 0xffff, v209
                                        ; implicit-def: $vgpr208_vgpr209
	s_delay_alu instid0(VALU_DEP_1) | instskip(NEXT) | instid1(VALU_DEP_1)
	v_mul_u32_u24_e32 v0, 0x121, v0
	v_add_lshl_u32 v252, v0, v210, 4
	ds_store_b128 v252, v[132:135]
	ds_store_b128 v252, v[136:139] offset:272
	ds_store_b128 v252, v[144:147] offset:544
	;; [unrolled: 1-line block ×16, first 2 shown]
	s_waitcnt lgkmcnt(0)
	s_barrier
	buffer_gl0_inv
	ds_load_b128 v[204:207], v246
	ds_load_b128 v[156:159], v246 offset:4624
	ds_load_b128 v[184:187], v246 offset:9248
	;; [unrolled: 1-line block ×11, first 2 shown]
	s_and_saveexec_b32 s0, vcc_lo
	s_cbranch_execz .LBB0_3
; %bb.2:
	ds_load_b128 v[196:199], v246 offset:3264
	ds_load_b128 v[148:151], v246 offset:7888
	;; [unrolled: 1-line block ×6, first 2 shown]
.LBB0_3:
	s_or_b32 exec_lo, exec_lo, s0
	scratch_load_b32 v32, off, off          ; 4-byte Folded Reload
	s_mov_b32 s3, 0xbfebb67a
	s_waitcnt vmcnt(0)
	v_mad_u64_u32 v[0:1], null, 0x50, v32, s[10:11]
	s_delay_alu instid0(VALU_DEP_1) | instskip(NEXT) | instid1(VALU_DEP_1)
	v_add_co_u32 v2, s0, 0x1100, v0
	v_add_co_ci_u32_e64 v3, s0, 0, v1, s0
	v_add_co_u32 v8, s0, 0x1000, v0
	s_delay_alu instid0(VALU_DEP_1) | instskip(SKIP_2) | instid1(VALU_DEP_1)
	v_add_co_ci_u32_e64 v9, s0, 0, v1, s0
	global_load_b128 v[136:139], v[2:3], off offset:32
	v_add_co_u32 v14, s0, 0x30e0, v0
	v_add_co_ci_u32_e64 v15, s0, 0, v1, s0
	v_add_co_u32 v0, s0, 0x3000, v0
	s_delay_alu instid0(VALU_DEP_1) | instskip(SKIP_4) | instid1(VALU_DEP_2)
	v_add_co_ci_u32_e64 v1, s0, 0, v1, s0
	global_load_b128 v[188:191], v[14:15], off offset:48
	s_waitcnt vmcnt(1) lgkmcnt(8)
	v_mul_f64 v[4:5], v[174:175], v[138:139]
	v_mul_f64 v[6:7], v[172:173], v[138:139]
	v_fma_f64 v[4:5], v[172:173], v[136:137], -v[4:5]
	s_delay_alu instid0(VALU_DEP_2) | instskip(SKIP_4) | instid1(VALU_DEP_2)
	v_fma_f64 v[6:7], v[174:175], v[136:137], v[6:7]
	global_load_b128 v[172:175], v[8:9], off offset:320
	s_waitcnt vmcnt(0) lgkmcnt(6)
	v_mul_f64 v[10:11], v[164:165], v[174:175]
	v_mul_f64 v[12:13], v[166:167], v[174:175]
	v_fma_f64 v[10:11], v[166:167], v[172:173], v[10:11]
	s_delay_alu instid0(VALU_DEP_2) | instskip(SKIP_4) | instid1(VALU_DEP_2)
	v_fma_f64 v[12:13], v[164:165], v[172:173], -v[12:13]
	global_load_b128 v[164:167], v[14:15], off offset:32
	s_waitcnt vmcnt(0) lgkmcnt(2)
	v_mul_f64 v[16:17], v[170:171], v[166:167]
	v_mul_f64 v[18:19], v[168:169], v[166:167]
	v_fma_f64 v[16:17], v[168:169], v[164:165], -v[16:17]
	s_delay_alu instid0(VALU_DEP_2) | instskip(SKIP_4) | instid1(VALU_DEP_2)
	v_fma_f64 v[18:19], v[170:171], v[164:165], v[18:19]
	global_load_b128 v[168:171], v[0:1], off offset:288
	s_waitcnt vmcnt(0) lgkmcnt(0)
	v_mul_f64 v[20:21], v[152:153], v[170:171]
	v_mul_f64 v[22:23], v[154:155], v[170:171]
	v_fma_f64 v[20:21], v[154:155], v[168:169], v[20:21]
	s_delay_alu instid0(VALU_DEP_2) | instskip(SKIP_4) | instid1(VALU_DEP_2)
	v_fma_f64 v[22:23], v[152:153], v[168:169], -v[22:23]
	global_load_b128 v[152:155], v[8:9], off offset:256
	s_waitcnt vmcnt(0)
	v_mul_f64 v[8:9], v[158:159], v[154:155]
	v_mul_f64 v[24:25], v[156:157], v[154:155]
	v_fma_f64 v[8:9], v[156:157], v[152:153], -v[8:9]
	s_delay_alu instid0(VALU_DEP_2) | instskip(SKIP_3) | instid1(VALU_DEP_1)
	v_fma_f64 v[24:25], v[158:159], v[152:153], v[24:25]
	global_load_b128 v[156:159], v[0:1], off offset:224
	s_waitcnt vmcnt(0)
	v_mul_f64 v[0:1], v[162:163], v[158:159]
	v_fma_f64 v[26:27], v[160:161], v[156:157], -v[0:1]
	v_mul_f64 v[0:1], v[160:161], v[158:159]
	s_delay_alu instid0(VALU_DEP_1) | instskip(SKIP_3) | instid1(VALU_DEP_1)
	v_fma_f64 v[244:245], v[162:163], v[156:157], v[0:1]
	global_load_b128 v[160:163], v[2:3], off offset:16
	s_waitcnt vmcnt(0)
	v_mul_f64 v[0:1], v[186:187], v[162:163]
	v_fma_f64 v[234:235], v[184:185], v[160:161], -v[0:1]
	v_mul_f64 v[0:1], v[184:185], v[162:163]
	s_delay_alu instid0(VALU_DEP_1) | instskip(SKIP_3) | instid1(VALU_DEP_1)
	;; [unrolled: 7-line block ×3, first 2 shown]
	v_fma_f64 v[240:241], v[182:183], v[184:185], v[0:1]
	global_load_b128 v[180:183], v[14:15], off offset:16
	s_waitcnt vmcnt(0)
	v_mul_f64 v[0:1], v[146:147], v[182:183]
	v_fma_f64 v[253:254], v[144:145], v[180:181], -v[0:1]
	v_mul_f64 v[0:1], v[144:145], v[182:183]
	s_delay_alu instid0(VALU_DEP_2) | instskip(NEXT) | instid1(VALU_DEP_2)
	v_add_f64 v[38:39], v[200:201], v[253:254]
	v_fma_f64 v[28:29], v[146:147], v[180:181], v[0:1]
	v_mul_f64 v[0:1], v[134:135], v[190:191]
	s_delay_alu instid0(VALU_DEP_1) | instskip(SKIP_1) | instid1(VALU_DEP_2)
	v_fma_f64 v[14:15], v[132:133], v[188:189], -v[0:1]
	v_mul_f64 v[0:1], v[132:133], v[190:191]
	v_add_f64 v[38:39], v[38:39], v[14:15]
	s_delay_alu instid0(VALU_DEP_2) | instskip(SKIP_2) | instid1(VALU_DEP_1)
	v_fma_f64 v[30:31], v[134:135], v[188:189], v[0:1]
	v_add_nc_u32_e32 v0, 0xcc, v32
	v_add_nc_u32_e32 v1, 0xffffffab, v32
	v_cndmask_b32_e32 v0, v1, v0, vcc_lo
	s_delay_alu instid0(VALU_DEP_1) | instskip(SKIP_1) | instid1(VALU_DEP_2)
	v_mul_i32_i24_e32 v1, 0x50, v0
	v_mul_hi_i32_i24_e32 v0, 0x50, v0
	v_add_co_u32 v34, s0, s10, v1
	s_delay_alu instid0(VALU_DEP_1) | instskip(NEXT) | instid1(VALU_DEP_2)
	v_add_co_ci_u32_e64 v35, s0, s11, v0, s0
	v_add_co_u32 v32, s0, 0x1100, v34
	s_delay_alu instid0(VALU_DEP_1) | instskip(SKIP_1) | instid1(VALU_DEP_1)
	v_add_co_ci_u32_e64 v33, s0, 0, v35, s0
	v_add_co_u32 v34, s0, 0x1000, v34
	v_add_co_ci_u32_e64 v35, s0, 0, v35, s0
	global_load_b128 v[132:135], v[32:33], off offset:32
	s_mov_b32 s0, 0xe8584caa
	s_mov_b32 s1, 0x3febb67a
	global_load_b128 v[144:147], v[34:35], off offset:320
	s_mov_b32 s2, s0
	s_waitcnt vmcnt(1)
	v_mul_f64 v[0:1], v[142:143], v[134:135]
	s_delay_alu instid0(VALU_DEP_1) | instskip(SKIP_3) | instid1(VALU_DEP_2)
	v_fma_f64 v[2:3], v[140:141], v[132:133], -v[0:1]
	v_mul_f64 v[0:1], v[140:141], v[134:135]
	s_waitcnt vmcnt(0)
	v_mul_f64 v[140:141], v[208:209], v[146:147]
	v_fma_f64 v[214:215], v[142:143], v[132:133], v[0:1]
	v_mul_f64 v[0:1], v[210:211], v[146:147]
	s_delay_alu instid0(VALU_DEP_1) | instskip(NEXT) | instid1(VALU_DEP_4)
	v_fma_f64 v[0:1], v[208:209], v[144:145], -v[0:1]
	v_fma_f64 v[208:209], v[210:211], v[144:145], v[140:141]
	global_load_b128 v[140:143], v[34:35], off offset:256
	s_waitcnt vmcnt(0)
	v_mul_f64 v[34:35], v[150:151], v[142:143]
	s_delay_alu instid0(VALU_DEP_1) | instskip(SKIP_1) | instid1(VALU_DEP_1)
	v_fma_f64 v[210:211], v[148:149], v[140:141], -v[34:35]
	v_mul_f64 v[34:35], v[148:149], v[142:143]
	v_fma_f64 v[218:219], v[150:151], v[140:141], v[34:35]
	global_load_b128 v[148:151], v[32:33], off offset:16
	s_waitcnt vmcnt(0)
	v_mul_f64 v[34:35], v[178:179], v[150:151]
	s_delay_alu instid0(VALU_DEP_1) | instskip(SKIP_2) | instid1(VALU_DEP_2)
	v_fma_f64 v[216:217], v[176:177], v[148:149], -v[34:35]
	v_mul_f64 v[34:35], v[176:177], v[150:151]
	v_add_f64 v[176:177], v[236:237], v[240:241]
	v_fma_f64 v[220:221], v[178:179], v[148:149], v[34:35]
	v_add_f64 v[34:35], v[234:235], v[238:239]
	v_add_f64 v[178:179], v[204:205], v[234:235]
	s_delay_alu instid0(VALU_DEP_4) | instskip(NEXT) | instid1(VALU_DEP_3)
	v_fma_f64 v[176:177], v[176:177], -0.5, v[206:207]
	v_fma_f64 v[34:35], v[34:35], -0.5, v[204:205]
	v_add_f64 v[204:205], v[206:207], v[236:237]
	s_delay_alu instid0(VALU_DEP_4) | instskip(NEXT) | instid1(VALU_DEP_2)
	v_add_f64 v[178:179], v[178:179], v[238:239]
	v_add_f64 v[224:225], v[204:205], v[240:241]
	;; [unrolled: 1-line block ×3, first 2 shown]
	s_delay_alu instid0(VALU_DEP_1) | instskip(SKIP_1) | instid1(VALU_DEP_1)
	v_add_f64 v[222:223], v[204:205], v[12:13]
	v_add_f64 v[204:205], v[24:25], v[6:7]
	;; [unrolled: 1-line block ×3, first 2 shown]
	s_delay_alu instid0(VALU_DEP_3) | instskip(SKIP_2) | instid1(VALU_DEP_4)
	v_add_f64 v[204:205], v[178:179], v[222:223]
	v_add_f64 v[222:223], v[178:179], -v[222:223]
	v_add_f64 v[178:179], v[253:254], v[14:15]
	v_add_f64 v[206:207], v[224:225], v[226:227]
	v_add_f64 v[224:225], v[224:225], -v[226:227]
	v_add_f64 v[226:227], v[28:29], v[30:31]
	s_delay_alu instid0(VALU_DEP_4) | instskip(SKIP_1) | instid1(VALU_DEP_3)
	v_fma_f64 v[178:179], v[178:179], -0.5, v[200:201]
	v_add_f64 v[200:201], v[202:203], v[28:29]
	v_fma_f64 v[36:37], v[226:227], -0.5, v[202:203]
	v_add_f64 v[202:203], v[26:27], v[16:17]
	v_add_f64 v[226:227], v[244:245], v[18:19]
	s_delay_alu instid0(VALU_DEP_4) | instskip(NEXT) | instid1(VALU_DEP_3)
	v_add_f64 v[200:201], v[200:201], v[30:31]
	v_add_f64 v[202:203], v[202:203], v[22:23]
	s_delay_alu instid0(VALU_DEP_3) | instskip(NEXT) | instid1(VALU_DEP_2)
	v_add_f64 v[232:233], v[226:227], v[20:21]
	v_add_f64 v[226:227], v[38:39], v[202:203]
	v_add_f64 v[230:231], v[38:39], -v[202:203]
	v_add_f64 v[38:39], v[4:5], v[12:13]
	v_add_f64 v[4:5], v[4:5], -v[12:13]
	;; [unrolled: 2-line block ×4, first 2 shown]
	v_add_f64 v[10:11], v[236:237], -v[240:241]
	v_fma_f64 v[8:9], v[38:39], -0.5, v[8:9]
	v_fma_f64 v[12:13], v[12:13], -0.5, v[24:25]
	v_add_f64 v[24:25], v[234:235], -v[238:239]
	s_delay_alu instid0(VALU_DEP_3) | instskip(SKIP_1) | instid1(VALU_DEP_4)
	v_fma_f64 v[200:201], v[6:7], s[0:1], v[8:9]
	v_fma_f64 v[6:7], v[6:7], s[2:3], v[8:9]
	v_fma_f64 v[38:39], v[4:5], s[2:3], v[12:13]
	v_fma_f64 v[4:5], v[4:5], s[0:1], v[12:13]
	v_fma_f64 v[8:9], v[10:11], s[2:3], v[34:35]
	v_fma_f64 v[240:241], v[24:25], s[2:3], v[176:177]
	v_mul_f64 v[12:13], v[6:7], -0.5
	v_mul_f64 v[202:203], v[38:39], s[0:1]
	s_delay_alu instid0(VALU_DEP_2) | instskip(NEXT) | instid1(VALU_DEP_2)
	v_fma_f64 v[12:13], v[4:5], s[0:1], v[12:13]
	v_fma_f64 v[202:203], v[200:201], 0.5, v[202:203]
	v_mul_f64 v[200:201], v[200:201], s[2:3]
	v_mul_f64 v[4:5], v[4:5], -0.5
	s_delay_alu instid0(VALU_DEP_4) | instskip(NEXT) | instid1(VALU_DEP_3)
	v_add_f64 v[248:249], v[8:9], v[12:13]
	v_fma_f64 v[38:39], v[38:39], 0.5, v[200:201]
	v_fma_f64 v[200:201], v[10:11], s[0:1], v[34:35]
	v_fma_f64 v[10:11], v[24:25], s[0:1], v[176:177]
	;; [unrolled: 1-line block ×3, first 2 shown]
	v_add_f64 v[4:5], v[8:9], -v[12:13]
	v_add_f64 v[8:9], v[16:17], v[22:23]
	v_add_f64 v[16:17], v[16:17], -v[22:23]
	v_add_f64 v[24:25], v[253:254], -v[14:15]
	v_add_f64 v[236:237], v[240:241], v[38:39]
	v_add_f64 v[234:235], v[200:201], v[202:203]
	v_add_f64 v[238:239], v[200:201], -v[202:203]
	v_add_f64 v[250:251], v[10:11], v[6:7]
	v_add_f64 v[6:7], v[10:11], -v[6:7]
	;; [unrolled: 2-line block ×3, first 2 shown]
	v_add_f64 v[20:21], v[28:29], -v[30:31]
	v_fma_f64 v[26:27], v[8:9], -0.5, v[26:27]
	v_fma_f64 v[30:31], v[24:25], s[2:3], v[36:37]
	v_add_f64 v[240:241], v[240:241], -v[38:39]
	v_fma_f64 v[22:23], v[10:11], -0.5, v[244:245]
	v_fma_f64 v[28:29], v[20:21], s[0:1], v[178:179]
	v_fma_f64 v[20:21], v[20:21], s[2:3], v[178:179]
	global_load_b128 v[176:179], v[32:33], off offset:48
	v_fma_f64 v[10:11], v[18:19], s[0:1], v[26:27]
	v_fma_f64 v[18:19], v[18:19], s[2:3], v[26:27]
	;; [unrolled: 1-line block ×5, first 2 shown]
	s_delay_alu instid0(VALU_DEP_4) | instskip(NEXT) | instid1(VALU_DEP_4)
	v_mul_f64 v[24:25], v[18:19], -0.5
	v_mul_f64 v[12:13], v[8:9], s[0:1]
	s_delay_alu instid0(VALU_DEP_2) | instskip(SKIP_1) | instid1(VALU_DEP_3)
	v_fma_f64 v[24:25], v[16:17], s[0:1], v[24:25]
	v_mul_f64 v[16:17], v[16:17], -0.5
	v_fma_f64 v[12:13], v[10:11], 0.5, v[12:13]
	v_mul_f64 v[10:11], v[10:11], s[2:3]
	s_delay_alu instid0(VALU_DEP_3) | instskip(SKIP_2) | instid1(VALU_DEP_4)
	v_fma_f64 v[26:27], v[18:19], s[2:3], v[16:17]
	v_add_f64 v[16:17], v[20:21], v[24:25]
	v_add_f64 v[20:21], v[20:21], -v[24:25]
	v_fma_f64 v[14:15], v[8:9], 0.5, v[10:11]
	v_add_f64 v[8:9], v[28:29], v[12:13]
	v_add_f64 v[12:13], v[28:29], -v[12:13]
	v_add_f64 v[18:19], v[22:23], v[26:27]
	v_add_f64 v[22:23], v[22:23], -v[26:27]
	;; [unrolled: 2-line block ×3, first 2 shown]
	ds_store_b128 v246, v[204:207]
	ds_store_b128 v246, v[226:229] offset:1632
	ds_store_b128 v246, v[222:225] offset:13872
	;; [unrolled: 1-line block ×11, first 2 shown]
	v_add_f64 v[4:5], v[2:3], v[0:1]
	v_add_f64 v[238:239], v[214:215], -v[208:209]
	v_add_f64 v[240:241], v[2:3], -v[0:1]
	s_delay_alu instid0(VALU_DEP_3) | instskip(SKIP_1) | instid1(VALU_DEP_1)
	v_fma_f64 v[234:235], v[4:5], -0.5, v[210:211]
	v_add_f64 v[4:5], v[214:215], v[208:209]
	v_fma_f64 v[236:237], v[4:5], -0.5, v[218:219]
	s_delay_alu instid0(VALU_DEP_3) | instskip(SKIP_2) | instid1(VALU_DEP_3)
	v_fma_f64 v[4:5], v[238:239], s[2:3], v[234:235]
	s_waitcnt vmcnt(0)
	v_mul_f64 v[24:25], v[194:195], v[178:179]
	v_fma_f64 v[6:7], v[240:241], s[0:1], v[236:237]
	s_delay_alu instid0(VALU_DEP_3) | instskip(NEXT) | instid1(VALU_DEP_3)
	v_mul_f64 v[8:9], v[4:5], -0.5
	v_fma_f64 v[200:201], v[192:193], v[176:177], -v[24:25]
	v_mul_f64 v[24:25], v[192:193], v[178:179]
	s_delay_alu instid0(VALU_DEP_3) | instskip(SKIP_1) | instid1(VALU_DEP_4)
	v_fma_f64 v[204:205], v[6:7], s[0:1], v[8:9]
	v_mul_f64 v[6:7], v[6:7], -0.5
	v_add_f64 v[232:233], v[216:217], -v[200:201]
	s_delay_alu instid0(VALU_DEP_4) | instskip(NEXT) | instid1(VALU_DEP_3)
	v_fma_f64 v[202:203], v[194:195], v[176:177], v[24:25]
	v_fma_f64 v[222:223], v[4:5], s[2:3], v[6:7]
	v_add_f64 v[4:5], v[216:217], v[200:201]
	s_delay_alu instid0(VALU_DEP_3) | instskip(NEXT) | instid1(VALU_DEP_2)
	v_add_f64 v[230:231], v[220:221], -v[202:203]
	v_fma_f64 v[224:225], v[4:5], -0.5, v[196:197]
	v_add_f64 v[4:5], v[220:221], v[202:203]
	s_delay_alu instid0(VALU_DEP_2) | instskip(NEXT) | instid1(VALU_DEP_2)
	v_fma_f64 v[206:207], v[230:231], s[2:3], v[224:225]
	v_fma_f64 v[228:229], v[4:5], -0.5, v[198:199]
	s_delay_alu instid0(VALU_DEP_2) | instskip(NEXT) | instid1(VALU_DEP_2)
	v_add_f64 v[4:5], v[206:207], -v[204:205]
	v_fma_f64 v[226:227], v[232:233], s[0:1], v[228:229]
	s_delay_alu instid0(VALU_DEP_1)
	v_add_f64 v[6:7], v[226:227], -v[222:223]
	scratch_store_b128 off, v[4:7], off offset:4 ; 16-byte Folded Spill
	s_and_saveexec_b32 s2, vcc_lo
	s_cbranch_execz .LBB0_5
; %bb.4:
	v_mul_f64 v[4:5], v[238:239], s[0:1]
	v_mul_f64 v[6:7], v[240:241], s[0:1]
	v_add_f64 v[8:9], v[198:199], v[220:221]
	v_add_f64 v[10:11], v[218:219], v[214:215]
	;; [unrolled: 1-line block ×4, first 2 shown]
	v_mul_f64 v[14:15], v[232:233], s[0:1]
	v_mul_f64 v[18:19], v[230:231], s[0:1]
	v_add_f64 v[4:5], v[4:5], v[234:235]
	v_add_f64 v[6:7], v[236:237], -v[6:7]
	v_add_f64 v[8:9], v[8:9], v[202:203]
	v_add_f64 v[10:11], v[10:11], v[208:209]
	;; [unrolled: 1-line block ×4, first 2 shown]
	v_add_f64 v[24:25], v[228:229], -v[14:15]
	v_add_f64 v[26:27], v[18:19], v[224:225]
	v_add_f64 v[2:3], v[226:227], v[222:223]
	;; [unrolled: 1-line block ×3, first 2 shown]
	v_mul_f64 v[16:17], v[4:5], s[0:1]
	v_mul_f64 v[20:21], v[6:7], s[0:1]
	s_delay_alu instid0(VALU_DEP_2) | instskip(NEXT) | instid1(VALU_DEP_2)
	v_fma_f64 v[16:17], v[6:7], 0.5, -v[16:17]
	v_fma_f64 v[20:21], v[4:5], 0.5, v[20:21]
	v_add_f64 v[6:7], v[8:9], -v[10:11]
	v_add_f64 v[4:5], v[12:13], -v[22:23]
	v_add_f64 v[10:11], v[8:9], v[10:11]
	v_add_f64 v[8:9], v[12:13], v[22:23]
	v_add_f64 v[14:15], v[24:25], -v[16:17]
	v_add_f64 v[18:19], v[24:25], v[16:17]
	v_add_f64 v[16:17], v[26:27], v[20:21]
	v_add_f64 v[12:13], v[26:27], -v[20:21]
	ds_store_b128 v246, v[0:3] offset:12512
	ds_store_b128 v246, v[4:7] offset:17136
	;; [unrolled: 1-line block ×5, first 2 shown]
	scratch_load_b128 v[0:3], off, off offset:4 ; 16-byte Folded Reload
	s_waitcnt vmcnt(0)
	ds_store_b128 v246, v[0:3] offset:26384
.LBB0_5:
	s_or_b32 exec_lo, exec_lo, s2
	s_waitcnt lgkmcnt(0)
	s_waitcnt_vscnt null, 0x0
	s_barrier
	buffer_gl0_inv
	global_load_b128 v[4:7], v[212:213], off offset:3168
	ds_load_b128 v[0:3], v246
	v_add_co_u32 v12, s0, 0x6c60, v242
	s_delay_alu instid0(VALU_DEP_1)
	v_add_co_ci_u32_e64 v13, s0, 0, v243, s0
	s_mov_b32 s46, 0x5d8e7cdc
	s_mov_b32 s36, 0x2a9d6da3
	;; [unrolled: 1-line block ×45, first 2 shown]
	s_waitcnt vmcnt(0) lgkmcnt(0)
	v_mul_f64 v[8:9], v[2:3], v[6:7]
	s_delay_alu instid0(VALU_DEP_1) | instskip(SKIP_1) | instid1(VALU_DEP_1)
	v_fma_f64 v[8:9], v[0:1], v[4:5], -v[8:9]
	v_mul_f64 v[0:1], v[0:1], v[6:7]
	v_fma_f64 v[10:11], v[2:3], v[4:5], v[0:1]
	global_load_b128 v[4:7], v[12:13], off offset:1632
	ds_load_b128 v[0:3], v246 offset:1632
	ds_store_b128 v246, v[8:11]
	s_waitcnt vmcnt(0) lgkmcnt(1)
	v_mul_f64 v[8:9], v[2:3], v[6:7]
	s_delay_alu instid0(VALU_DEP_1) | instskip(SKIP_1) | instid1(VALU_DEP_1)
	v_fma_f64 v[8:9], v[0:1], v[4:5], -v[8:9]
	v_mul_f64 v[0:1], v[0:1], v[6:7]
	v_fma_f64 v[10:11], v[2:3], v[4:5], v[0:1]
	global_load_b128 v[4:7], v[12:13], off offset:3264
	ds_load_b128 v[0:3], v246 offset:3264
	ds_store_b128 v246, v[8:11] offset:1632
	s_waitcnt vmcnt(0) lgkmcnt(1)
	v_mul_f64 v[8:9], v[2:3], v[6:7]
	s_delay_alu instid0(VALU_DEP_1) | instskip(SKIP_1) | instid1(VALU_DEP_1)
	v_fma_f64 v[8:9], v[0:1], v[4:5], -v[8:9]
	v_mul_f64 v[0:1], v[0:1], v[6:7]
	v_fma_f64 v[10:11], v[2:3], v[4:5], v[0:1]
	v_add_co_u32 v4, s0, 0x7000, v242
	s_delay_alu instid0(VALU_DEP_1)
	v_add_co_ci_u32_e64 v5, s0, 0, v243, s0
	ds_load_b128 v[0:3], v246 offset:4896
	v_add_co_u32 v12, s0, 0x8000, v242
	global_load_b128 v[4:7], v[4:5], off offset:3968
	v_add_co_ci_u32_e64 v13, s0, 0, v243, s0
	ds_store_b128 v246, v[8:11] offset:3264
	s_waitcnt vmcnt(0) lgkmcnt(1)
	v_mul_f64 v[8:9], v[2:3], v[6:7]
	s_delay_alu instid0(VALU_DEP_1) | instskip(SKIP_1) | instid1(VALU_DEP_1)
	v_fma_f64 v[8:9], v[0:1], v[4:5], -v[8:9]
	v_mul_f64 v[0:1], v[0:1], v[6:7]
	v_fma_f64 v[10:11], v[2:3], v[4:5], v[0:1]
	global_load_b128 v[4:7], v[12:13], off offset:1504
	ds_load_b128 v[0:3], v246 offset:6528
	ds_store_b128 v246, v[8:11] offset:4896
	s_waitcnt vmcnt(0) lgkmcnt(1)
	v_mul_f64 v[8:9], v[2:3], v[6:7]
	s_delay_alu instid0(VALU_DEP_1) | instskip(SKIP_1) | instid1(VALU_DEP_1)
	v_fma_f64 v[8:9], v[0:1], v[4:5], -v[8:9]
	v_mul_f64 v[0:1], v[0:1], v[6:7]
	v_fma_f64 v[10:11], v[2:3], v[4:5], v[0:1]
	global_load_b128 v[4:7], v[12:13], off offset:3136
	ds_load_b128 v[0:3], v246 offset:8160
	v_add_co_u32 v12, s0, 0x9000, v242
	s_delay_alu instid0(VALU_DEP_1) | instskip(SKIP_3) | instid1(VALU_DEP_1)
	v_add_co_ci_u32_e64 v13, s0, 0, v243, s0
	ds_store_b128 v246, v[8:11] offset:6528
	s_waitcnt vmcnt(0) lgkmcnt(1)
	v_mul_f64 v[8:9], v[2:3], v[6:7]
	v_fma_f64 v[8:9], v[0:1], v[4:5], -v[8:9]
	v_mul_f64 v[0:1], v[0:1], v[6:7]
	s_delay_alu instid0(VALU_DEP_1)
	v_fma_f64 v[10:11], v[2:3], v[4:5], v[0:1]
	global_load_b128 v[4:7], v[12:13], off offset:672
	ds_load_b128 v[0:3], v246 offset:9792
	ds_store_b128 v246, v[8:11] offset:8160
	s_waitcnt vmcnt(0) lgkmcnt(1)
	v_mul_f64 v[8:9], v[2:3], v[6:7]
	s_delay_alu instid0(VALU_DEP_1) | instskip(SKIP_1) | instid1(VALU_DEP_1)
	v_fma_f64 v[8:9], v[0:1], v[4:5], -v[8:9]
	v_mul_f64 v[0:1], v[0:1], v[6:7]
	v_fma_f64 v[10:11], v[2:3], v[4:5], v[0:1]
	global_load_b128 v[4:7], v[12:13], off offset:2304
	ds_load_b128 v[0:3], v246 offset:11424
	ds_store_b128 v246, v[8:11] offset:9792
	s_waitcnt vmcnt(0) lgkmcnt(1)
	v_mul_f64 v[8:9], v[2:3], v[6:7]
	s_delay_alu instid0(VALU_DEP_1) | instskip(SKIP_1) | instid1(VALU_DEP_1)
	v_fma_f64 v[8:9], v[0:1], v[4:5], -v[8:9]
	v_mul_f64 v[0:1], v[0:1], v[6:7]
	v_fma_f64 v[10:11], v[2:3], v[4:5], v[0:1]
	global_load_b128 v[4:7], v[12:13], off offset:3936
	ds_load_b128 v[0:3], v246 offset:13056
	v_add_co_u32 v12, s0, 0xa000, v242
	s_delay_alu instid0(VALU_DEP_1) | instskip(SKIP_3) | instid1(VALU_DEP_1)
	v_add_co_ci_u32_e64 v13, s0, 0, v243, s0
	ds_store_b128 v246, v[8:11] offset:11424
	s_waitcnt vmcnt(0) lgkmcnt(1)
	v_mul_f64 v[8:9], v[2:3], v[6:7]
	v_fma_f64 v[8:9], v[0:1], v[4:5], -v[8:9]
	v_mul_f64 v[0:1], v[0:1], v[6:7]
	s_delay_alu instid0(VALU_DEP_1)
	v_fma_f64 v[10:11], v[2:3], v[4:5], v[0:1]
	global_load_b128 v[4:7], v[12:13], off offset:1472
	ds_load_b128 v[0:3], v246 offset:14688
	ds_store_b128 v246, v[8:11] offset:13056
	s_waitcnt vmcnt(0) lgkmcnt(1)
	v_mul_f64 v[8:9], v[2:3], v[6:7]
	s_delay_alu instid0(VALU_DEP_1) | instskip(SKIP_1) | instid1(VALU_DEP_1)
	v_fma_f64 v[8:9], v[0:1], v[4:5], -v[8:9]
	v_mul_f64 v[0:1], v[0:1], v[6:7]
	v_fma_f64 v[10:11], v[2:3], v[4:5], v[0:1]
	global_load_b128 v[4:7], v[12:13], off offset:3104
	ds_load_b128 v[0:3], v246 offset:16320
	v_add_co_u32 v12, s0, 0xb000, v242
	s_delay_alu instid0(VALU_DEP_1) | instskip(SKIP_3) | instid1(VALU_DEP_1)
	v_add_co_ci_u32_e64 v13, s0, 0, v243, s0
	ds_store_b128 v246, v[8:11] offset:14688
	s_waitcnt vmcnt(0) lgkmcnt(1)
	v_mul_f64 v[8:9], v[2:3], v[6:7]
	v_fma_f64 v[8:9], v[0:1], v[4:5], -v[8:9]
	v_mul_f64 v[0:1], v[0:1], v[6:7]
	s_delay_alu instid0(VALU_DEP_1)
	v_fma_f64 v[10:11], v[2:3], v[4:5], v[0:1]
	global_load_b128 v[4:7], v[12:13], off offset:640
	ds_load_b128 v[0:3], v246 offset:17952
	ds_store_b128 v246, v[8:11] offset:16320
	s_waitcnt vmcnt(0) lgkmcnt(1)
	v_mul_f64 v[8:9], v[2:3], v[6:7]
	s_delay_alu instid0(VALU_DEP_1) | instskip(SKIP_1) | instid1(VALU_DEP_1)
	v_fma_f64 v[8:9], v[0:1], v[4:5], -v[8:9]
	v_mul_f64 v[0:1], v[0:1], v[6:7]
	v_fma_f64 v[10:11], v[2:3], v[4:5], v[0:1]
	global_load_b128 v[4:7], v[12:13], off offset:2272
	ds_load_b128 v[0:3], v246 offset:19584
	ds_store_b128 v246, v[8:11] offset:17952
	s_waitcnt vmcnt(0) lgkmcnt(1)
	v_mul_f64 v[8:9], v[2:3], v[6:7]
	s_delay_alu instid0(VALU_DEP_1) | instskip(SKIP_1) | instid1(VALU_DEP_1)
	v_fma_f64 v[8:9], v[0:1], v[4:5], -v[8:9]
	v_mul_f64 v[0:1], v[0:1], v[6:7]
	v_fma_f64 v[10:11], v[2:3], v[4:5], v[0:1]
	global_load_b128 v[4:7], v[12:13], off offset:3904
	ds_load_b128 v[0:3], v246 offset:21216
	v_add_co_u32 v12, s0, 0xc000, v242
	s_delay_alu instid0(VALU_DEP_1) | instskip(SKIP_3) | instid1(VALU_DEP_1)
	v_add_co_ci_u32_e64 v13, s0, 0, v243, s0
	ds_store_b128 v246, v[8:11] offset:19584
	s_waitcnt vmcnt(0) lgkmcnt(1)
	v_mul_f64 v[8:9], v[2:3], v[6:7]
	v_fma_f64 v[8:9], v[0:1], v[4:5], -v[8:9]
	v_mul_f64 v[0:1], v[0:1], v[6:7]
	s_delay_alu instid0(VALU_DEP_1)
	v_fma_f64 v[10:11], v[2:3], v[4:5], v[0:1]
	global_load_b128 v[4:7], v[12:13], off offset:1440
	ds_load_b128 v[0:3], v246 offset:22848
	ds_store_b128 v246, v[8:11] offset:21216
	s_waitcnt vmcnt(0) lgkmcnt(1)
	v_mul_f64 v[8:9], v[2:3], v[6:7]
	s_delay_alu instid0(VALU_DEP_1) | instskip(SKIP_1) | instid1(VALU_DEP_1)
	v_fma_f64 v[8:9], v[0:1], v[4:5], -v[8:9]
	v_mul_f64 v[0:1], v[0:1], v[6:7]
	v_fma_f64 v[10:11], v[2:3], v[4:5], v[0:1]
	global_load_b128 v[4:7], v[12:13], off offset:3072
	ds_load_b128 v[0:3], v246 offset:24480
	ds_store_b128 v246, v[8:11] offset:22848
	s_waitcnt vmcnt(0) lgkmcnt(1)
	v_mul_f64 v[8:9], v[2:3], v[6:7]
	s_delay_alu instid0(VALU_DEP_1) | instskip(SKIP_1) | instid1(VALU_DEP_1)
	v_fma_f64 v[8:9], v[0:1], v[4:5], -v[8:9]
	v_mul_f64 v[0:1], v[0:1], v[6:7]
	v_fma_f64 v[10:11], v[2:3], v[4:5], v[0:1]
	v_add_co_u32 v4, s0, 0xd000, v242
	s_delay_alu instid0(VALU_DEP_1)
	v_add_co_ci_u32_e64 v5, s0, 0, v243, s0
	ds_load_b128 v[0:3], v246 offset:26112
	s_mov_b32 s0, s8
	global_load_b128 v[4:7], v[4:5], off offset:608
	ds_store_b128 v246, v[8:11] offset:24480
	s_waitcnt vmcnt(0) lgkmcnt(1)
	v_mul_f64 v[8:9], v[2:3], v[6:7]
	s_delay_alu instid0(VALU_DEP_1) | instskip(SKIP_1) | instid1(VALU_DEP_1)
	v_fma_f64 v[8:9], v[0:1], v[4:5], -v[8:9]
	v_mul_f64 v[0:1], v[0:1], v[6:7]
	v_fma_f64 v[10:11], v[2:3], v[4:5], v[0:1]
	ds_store_b128 v246, v[8:11] offset:26112
	s_waitcnt lgkmcnt(0)
	s_barrier
	buffer_gl0_inv
	ds_load_b128 v[0:3], v246
	ds_load_b128 v[4:7], v246 offset:1632
	ds_load_b128 v[8:11], v246 offset:3264
	;; [unrolled: 1-line block ×16, first 2 shown]
	s_waitcnt lgkmcnt(15)
	v_add_f64 v[24:25], v[0:1], v[4:5]
	v_add_f64 v[26:27], v[2:3], v[6:7]
	s_waitcnt lgkmcnt(14)
	s_delay_alu instid0(VALU_DEP_2) | instskip(NEXT) | instid1(VALU_DEP_2)
	v_add_f64 v[24:25], v[24:25], v[8:9]
	v_add_f64 v[26:27], v[26:27], v[10:11]
	s_waitcnt lgkmcnt(13)
	s_delay_alu instid0(VALU_DEP_2) | instskip(NEXT) | instid1(VALU_DEP_2)
	;; [unrolled: 4-line block ×15, first 2 shown]
	v_add_f64 v[24:25], v[24:25], v[240:241]
	v_add_f64 v[26:27], v[26:27], v[242:243]
	scratch_store_b128 off, v[24:27], off offset:300 ; 16-byte Folded Spill
	v_add_f64 v[26:27], v[6:7], v[242:243]
	v_add_f64 v[6:7], v[6:7], -v[242:243]
	v_add_f64 v[24:25], v[4:5], v[240:241]
	v_add_f64 v[4:5], v[4:5], -v[240:241]
	s_waitcnt_vscnt null, 0x0
	s_barrier
	buffer_gl0_inv
	v_mul_f64 v[32:33], v[26:27], s[42:43]
	v_mul_f64 v[28:29], v[6:7], s[46:47]
	;; [unrolled: 1-line block ×16, first 2 shown]
	v_fma_f64 v[34:35], v[4:5], s[44:45], v[32:33]
	v_fma_f64 v[30:31], v[24:25], s[42:43], v[28:29]
	v_fma_f64 v[28:29], v[24:25], s[42:43], -v[28:29]
	v_fma_f64 v[38:39], v[24:25], s[30:31], v[36:37]
	v_fma_f64 v[36:37], v[24:25], s[30:31], -v[36:37]
	v_fma_f64 v[248:249], v[24:25], s[18:19], v[244:245]
	v_fma_f64 v[244:245], v[24:25], s[18:19], -v[244:245]
	v_fma_f64 v[42:43], v[24:25], s[2:3], v[40:41]
	v_fma_f64 v[40:41], v[24:25], s[2:3], -v[40:41]
	v_fma_f64 v[50:51], v[24:25], s[14:15], v[48:49]
	v_fma_f64 v[48:49], v[24:25], s[14:15], -v[48:49]
	v_fma_f64 v[58:59], v[24:25], s[26:27], v[56:57]
	v_fma_f64 v[56:57], v[24:25], s[26:27], -v[56:57]
	v_fma_f64 v[66:67], v[24:25], s[40:41], v[64:65]
	v_fma_f64 v[64:65], v[24:25], s[40:41], -v[64:65]
	v_fma_f64 v[196:197], v[24:25], s[52:53], v[6:7]
	v_fma_f64 v[6:7], v[24:25], s[52:53], -v[6:7]
	v_fma_f64 v[32:33], v[4:5], s[46:47], v[32:33]
	v_fma_f64 v[242:243], v[4:5], s[34:35], v[240:241]
	;; [unrolled: 1-line block ×15, first 2 shown]
	v_add_f64 v[34:35], v[2:3], v[34:35]
	v_add_f64 v[30:31], v[0:1], v[30:31]
	;; [unrolled: 1-line block ×18, first 2 shown]
	v_add_f64 v[10:11], v[10:11], -v[238:239]
	v_add_f64 v[32:33], v[2:3], v[32:33]
	v_add_f64 v[242:243], v[2:3], v[242:243]
	;; [unrolled: 1-line block ×16, first 2 shown]
	v_add_f64 v[8:9], v[8:9], -v[236:237]
	v_mul_f64 v[24:25], v[10:11], s[36:37]
	s_delay_alu instid0(VALU_DEP_1) | instskip(SKIP_1) | instid1(VALU_DEP_2)
	v_fma_f64 v[26:27], v[4:5], s[30:31], v[24:25]
	v_fma_f64 v[24:25], v[4:5], s[30:31], -v[24:25]
	v_add_f64 v[26:27], v[26:27], v[30:31]
	v_mul_f64 v[30:31], v[6:7], s[30:31]
	s_delay_alu instid0(VALU_DEP_3) | instskip(NEXT) | instid1(VALU_DEP_2)
	v_add_f64 v[24:25], v[24:25], v[28:29]
	v_fma_f64 v[236:237], v[8:9], s[34:35], v[30:31]
	v_fma_f64 v[28:29], v[8:9], s[36:37], v[30:31]
	v_mul_f64 v[30:31], v[10:11], s[8:9]
	s_delay_alu instid0(VALU_DEP_3) | instskip(NEXT) | instid1(VALU_DEP_3)
	v_add_f64 v[34:35], v[236:237], v[34:35]
	v_add_f64 v[28:29], v[28:29], v[32:33]
	s_delay_alu instid0(VALU_DEP_3) | instskip(SKIP_1) | instid1(VALU_DEP_2)
	v_fma_f64 v[32:33], v[4:5], s[2:3], v[30:31]
	v_fma_f64 v[30:31], v[4:5], s[2:3], -v[30:31]
	v_add_f64 v[32:33], v[32:33], v[38:39]
	v_mul_f64 v[38:39], v[6:7], s[2:3]
	s_delay_alu instid0(VALU_DEP_3) | instskip(NEXT) | instid1(VALU_DEP_2)
	v_add_f64 v[30:31], v[30:31], v[36:37]
	v_fma_f64 v[236:237], v[8:9], s[0:1], v[38:39]
	v_fma_f64 v[36:37], v[8:9], s[8:9], v[38:39]
	v_mul_f64 v[38:39], v[10:11], s[24:25]
	s_delay_alu instid0(VALU_DEP_3) | instskip(NEXT) | instid1(VALU_DEP_3)
	v_add_f64 v[236:237], v[236:237], v[242:243]
	v_add_f64 v[36:37], v[36:37], v[240:241]
	s_delay_alu instid0(VALU_DEP_3) | instskip(SKIP_2) | instid1(VALU_DEP_3)
	v_fma_f64 v[238:239], v[4:5], s[26:27], v[38:39]
	v_fma_f64 v[38:39], v[4:5], s[26:27], -v[38:39]
	v_mul_f64 v[240:241], v[6:7], s[26:27]
	v_add_f64 v[238:239], v[238:239], v[248:249]
	s_delay_alu instid0(VALU_DEP_3) | instskip(SKIP_1) | instid1(VALU_DEP_4)
	v_add_f64 v[38:39], v[38:39], v[244:245]
	v_mul_f64 v[244:245], v[10:11], s[50:51]
	v_fma_f64 v[242:243], v[8:9], s[28:29], v[240:241]
	v_fma_f64 v[240:241], v[8:9], s[24:25], v[240:241]
	s_delay_alu instid0(VALU_DEP_3) | instskip(SKIP_1) | instid1(VALU_DEP_3)
	v_fma_f64 v[248:249], v[4:5], s[52:53], v[244:245]
	v_fma_f64 v[244:245], v[4:5], s[52:53], -v[244:245]
	v_add_f64 v[240:241], v[240:241], v[250:251]
	v_add_f64 v[242:243], v[242:243], v[253:254]
	s_delay_alu instid0(VALU_DEP_4) | instskip(SKIP_2) | instid1(VALU_DEP_2)
	v_add_f64 v[42:43], v[248:249], v[42:43]
	v_mul_f64 v[248:249], v[6:7], s[52:53]
	v_add_f64 v[40:41], v[244:245], v[40:41]
	v_fma_f64 v[244:245], v[8:9], s[50:51], v[248:249]
	v_fma_f64 v[250:251], v[8:9], s[54:55], v[248:249]
	s_delay_alu instid0(VALU_DEP_2) | instskip(SKIP_1) | instid1(VALU_DEP_3)
	v_add_f64 v[44:45], v[244:245], v[44:45]
	v_mul_f64 v[244:245], v[10:11], s[48:49]
	v_add_f64 v[46:47], v[250:251], v[46:47]
	s_delay_alu instid0(VALU_DEP_2) | instskip(SKIP_1) | instid1(VALU_DEP_2)
	v_fma_f64 v[248:249], v[4:5], s[40:41], v[244:245]
	v_fma_f64 v[244:245], v[4:5], s[40:41], -v[244:245]
	v_add_f64 v[50:51], v[248:249], v[50:51]
	v_mul_f64 v[248:249], v[6:7], s[40:41]
	s_delay_alu instid0(VALU_DEP_3) | instskip(NEXT) | instid1(VALU_DEP_2)
	v_add_f64 v[48:49], v[244:245], v[48:49]
	v_fma_f64 v[244:245], v[8:9], s[48:49], v[248:249]
	v_fma_f64 v[250:251], v[8:9], s[38:39], v[248:249]
	s_delay_alu instid0(VALU_DEP_2) | instskip(SKIP_1) | instid1(VALU_DEP_3)
	v_add_f64 v[52:53], v[244:245], v[52:53]
	v_mul_f64 v[244:245], v[10:11], s[16:17]
	v_add_f64 v[54:55], v[250:251], v[54:55]
	s_delay_alu instid0(VALU_DEP_2) | instskip(SKIP_1) | instid1(VALU_DEP_2)
	v_fma_f64 v[248:249], v[4:5], s[14:15], v[244:245]
	v_fma_f64 v[244:245], v[4:5], s[14:15], -v[244:245]
	v_add_f64 v[58:59], v[248:249], v[58:59]
	v_mul_f64 v[248:249], v[6:7], s[14:15]
	s_delay_alu instid0(VALU_DEP_3) | instskip(NEXT) | instid1(VALU_DEP_2)
	v_add_f64 v[56:57], v[244:245], v[56:57]
	v_fma_f64 v[244:245], v[8:9], s[16:17], v[248:249]
	v_fma_f64 v[250:251], v[8:9], s[10:11], v[248:249]
	s_delay_alu instid0(VALU_DEP_2) | instskip(SKIP_2) | instid1(VALU_DEP_4)
	v_add_f64 v[60:61], v[244:245], v[60:61]
	v_mul_f64 v[244:245], v[10:11], s[20:21]
	v_mul_f64 v[10:11], v[10:11], s[44:45]
	v_add_f64 v[62:63], v[250:251], v[62:63]
	s_delay_alu instid0(VALU_DEP_3) | instskip(SKIP_1) | instid1(VALU_DEP_2)
	v_fma_f64 v[248:249], v[4:5], s[18:19], v[244:245]
	v_fma_f64 v[244:245], v[4:5], s[18:19], -v[244:245]
	v_add_f64 v[66:67], v[248:249], v[66:67]
	v_mul_f64 v[248:249], v[6:7], s[18:19]
	s_delay_alu instid0(VALU_DEP_3) | instskip(SKIP_1) | instid1(VALU_DEP_3)
	v_add_f64 v[64:65], v[244:245], v[64:65]
	v_mul_f64 v[6:7], v[6:7], s[42:43]
	v_fma_f64 v[244:245], v[8:9], s[20:21], v[248:249]
	v_fma_f64 v[250:251], v[8:9], s[22:23], v[248:249]
	s_delay_alu instid0(VALU_DEP_2)
	v_add_f64 v[192:193], v[244:245], v[192:193]
	v_fma_f64 v[244:245], v[4:5], s[42:43], v[10:11]
	v_fma_f64 v[4:5], v[4:5], s[42:43], -v[10:11]
	v_add_f64 v[10:11], v[14:15], -v[22:23]
	v_add_f64 v[194:195], v[250:251], v[194:195]
	v_add_f64 v[250:251], v[200:201], -v[204:205]
	v_add_f64 v[196:197], v[244:245], v[196:197]
	v_add_f64 v[0:1], v[4:5], v[0:1]
	v_fma_f64 v[4:5], v[8:9], s[44:45], v[6:7]
	v_fma_f64 v[244:245], v[8:9], s[46:47], v[6:7]
	v_add_f64 v[8:9], v[12:13], -v[20:21]
	v_add_f64 v[6:7], v[14:15], v[22:23]
	s_delay_alu instid0(VALU_DEP_4) | instskip(SKIP_2) | instid1(VALU_DEP_4)
	v_add_f64 v[2:3], v[4:5], v[2:3]
	v_add_f64 v[4:5], v[12:13], v[20:21]
	v_mul_f64 v[12:13], v[10:11], s[22:23]
	v_mul_f64 v[20:21], v[6:7], s[18:19]
	v_add_f64 v[198:199], v[244:245], v[198:199]
	v_add_f64 v[244:245], v[200:201], v[204:205]
	s_delay_alu instid0(VALU_DEP_4) | instskip(SKIP_3) | instid1(VALU_DEP_4)
	v_fma_f64 v[14:15], v[4:5], s[18:19], v[12:13]
	v_fma_f64 v[12:13], v[4:5], s[18:19], -v[12:13]
	v_fma_f64 v[22:23], v[8:9], s[20:21], v[20:21]
	v_fma_f64 v[20:21], v[8:9], s[22:23], v[20:21]
	v_add_f64 v[14:15], v[14:15], v[26:27]
	s_delay_alu instid0(VALU_DEP_4) | instskip(SKIP_4) | instid1(VALU_DEP_4)
	v_add_f64 v[12:13], v[12:13], v[24:25]
	v_mul_f64 v[24:25], v[10:11], s[24:25]
	v_add_f64 v[22:23], v[22:23], v[34:35]
	v_add_f64 v[20:21], v[20:21], v[28:29]
	v_mul_f64 v[28:29], v[6:7], s[26:27]
	v_fma_f64 v[26:27], v[4:5], s[26:27], v[24:25]
	v_fma_f64 v[24:25], v[4:5], s[26:27], -v[24:25]
	s_delay_alu instid0(VALU_DEP_2) | instskip(NEXT) | instid1(VALU_DEP_2)
	v_add_f64 v[26:27], v[26:27], v[32:33]
	v_add_f64 v[24:25], v[24:25], v[30:31]
	v_mul_f64 v[30:31], v[10:11], s[54:55]
	v_fma_f64 v[32:33], v[8:9], s[28:29], v[28:29]
	v_fma_f64 v[28:29], v[8:9], s[24:25], v[28:29]
	s_delay_alu instid0(VALU_DEP_3) | instskip(SKIP_1) | instid1(VALU_DEP_3)
	v_fma_f64 v[34:35], v[4:5], s[52:53], v[30:31]
	v_fma_f64 v[30:31], v[4:5], s[52:53], -v[30:31]
	v_add_f64 v[28:29], v[28:29], v[36:37]
	v_mul_f64 v[36:37], v[6:7], s[52:53]
	v_add_f64 v[32:33], v[32:33], v[236:237]
	v_add_f64 v[34:35], v[34:35], v[238:239]
	;; [unrolled: 1-line block ×3, first 2 shown]
	v_mul_f64 v[38:39], v[10:11], s[16:17]
	v_fma_f64 v[236:237], v[8:9], s[50:51], v[36:37]
	v_fma_f64 v[36:37], v[8:9], s[54:55], v[36:37]
	s_delay_alu instid0(VALU_DEP_3) | instskip(SKIP_1) | instid1(VALU_DEP_3)
	v_fma_f64 v[238:239], v[4:5], s[14:15], v[38:39]
	v_fma_f64 v[38:39], v[4:5], s[14:15], -v[38:39]
	v_add_f64 v[36:37], v[36:37], v[240:241]
	v_add_f64 v[236:237], v[236:237], v[242:243]
	v_add_f64 v[242:243], v[202:203], -v[206:207]
	v_add_f64 v[42:43], v[238:239], v[42:43]
	v_mul_f64 v[238:239], v[6:7], s[14:15]
	v_add_f64 v[38:39], v[38:39], v[40:41]
	s_delay_alu instid0(VALU_DEP_2) | instskip(SKIP_1) | instid1(VALU_DEP_2)
	v_fma_f64 v[40:41], v[8:9], s[16:17], v[238:239]
	v_fma_f64 v[240:241], v[8:9], s[10:11], v[238:239]
	v_add_f64 v[40:41], v[40:41], v[44:45]
	v_mul_f64 v[44:45], v[10:11], s[34:35]
	s_delay_alu instid0(VALU_DEP_3) | instskip(NEXT) | instid1(VALU_DEP_2)
	v_add_f64 v[46:47], v[240:241], v[46:47]
	v_fma_f64 v[238:239], v[4:5], s[30:31], v[44:45]
	v_fma_f64 v[44:45], v[4:5], s[30:31], -v[44:45]
	s_delay_alu instid0(VALU_DEP_2) | instskip(SKIP_1) | instid1(VALU_DEP_3)
	v_add_f64 v[50:51], v[238:239], v[50:51]
	v_mul_f64 v[238:239], v[6:7], s[30:31]
	v_add_f64 v[44:45], v[44:45], v[48:49]
	s_delay_alu instid0(VALU_DEP_2) | instskip(SKIP_1) | instid1(VALU_DEP_2)
	v_fma_f64 v[48:49], v[8:9], s[34:35], v[238:239]
	v_fma_f64 v[240:241], v[8:9], s[36:37], v[238:239]
	v_add_f64 v[48:49], v[48:49], v[52:53]
	v_mul_f64 v[52:53], v[10:11], s[46:47]
	s_delay_alu instid0(VALU_DEP_3) | instskip(NEXT) | instid1(VALU_DEP_2)
	v_add_f64 v[54:55], v[240:241], v[54:55]
	v_fma_f64 v[238:239], v[4:5], s[42:43], v[52:53]
	v_fma_f64 v[52:53], v[4:5], s[42:43], -v[52:53]
	s_delay_alu instid0(VALU_DEP_2) | instskip(SKIP_1) | instid1(VALU_DEP_3)
	v_add_f64 v[58:59], v[238:239], v[58:59]
	v_mul_f64 v[238:239], v[6:7], s[42:43]
	v_add_f64 v[52:53], v[52:53], v[56:57]
	s_delay_alu instid0(VALU_DEP_2) | instskip(SKIP_1) | instid1(VALU_DEP_2)
	v_fma_f64 v[56:57], v[8:9], s[46:47], v[238:239]
	v_fma_f64 v[240:241], v[8:9], s[44:45], v[238:239]
	v_add_f64 v[56:57], v[56:57], v[60:61]
	v_mul_f64 v[60:61], v[10:11], s[8:9]
	v_mul_f64 v[10:11], v[10:11], s[38:39]
	s_delay_alu instid0(VALU_DEP_4) | instskip(NEXT) | instid1(VALU_DEP_3)
	v_add_f64 v[62:63], v[240:241], v[62:63]
	v_fma_f64 v[238:239], v[4:5], s[2:3], v[60:61]
	v_fma_f64 v[60:61], v[4:5], s[2:3], -v[60:61]
	s_delay_alu instid0(VALU_DEP_2) | instskip(SKIP_1) | instid1(VALU_DEP_3)
	v_add_f64 v[66:67], v[238:239], v[66:67]
	v_mul_f64 v[238:239], v[6:7], s[2:3]
	v_add_f64 v[60:61], v[60:61], v[64:65]
	v_mul_f64 v[6:7], v[6:7], s[40:41]
	s_delay_alu instid0(VALU_DEP_3) | instskip(SKIP_1) | instid1(VALU_DEP_2)
	v_fma_f64 v[64:65], v[8:9], s[8:9], v[238:239]
	v_fma_f64 v[240:241], v[8:9], s[0:1], v[238:239]
	v_add_f64 v[64:65], v[64:65], v[192:193]
	v_fma_f64 v[192:193], v[4:5], s[40:41], v[10:11]
	v_fma_f64 v[4:5], v[4:5], s[40:41], -v[10:11]
	v_add_f64 v[10:11], v[234:235], -v[18:19]
	v_add_f64 v[194:195], v[240:241], v[194:195]
	v_add_f64 v[240:241], v[202:203], v[206:207]
	;; [unrolled: 1-line block ×4, first 2 shown]
	v_fma_f64 v[4:5], v[8:9], s[38:39], v[6:7]
	v_fma_f64 v[196:197], v[8:9], s[48:49], v[6:7]
	v_add_f64 v[8:9], v[232:233], -v[16:17]
	v_add_f64 v[6:7], v[234:235], v[18:19]
	s_delay_alu instid0(VALU_DEP_4) | instskip(SKIP_3) | instid1(VALU_DEP_2)
	v_add_f64 v[2:3], v[4:5], v[2:3]
	v_add_f64 v[4:5], v[232:233], v[16:17]
	v_mul_f64 v[16:17], v[10:11], s[8:9]
	v_add_f64 v[196:197], v[196:197], v[198:199]
	v_fma_f64 v[18:19], v[4:5], s[2:3], v[16:17]
	v_fma_f64 v[16:17], v[4:5], s[2:3], -v[16:17]
	s_delay_alu instid0(VALU_DEP_2) | instskip(SKIP_1) | instid1(VALU_DEP_3)
	v_add_f64 v[14:15], v[18:19], v[14:15]
	v_mul_f64 v[18:19], v[6:7], s[2:3]
	v_add_f64 v[12:13], v[16:17], v[12:13]
	s_delay_alu instid0(VALU_DEP_2) | instskip(SKIP_2) | instid1(VALU_DEP_3)
	v_fma_f64 v[198:199], v[8:9], s[0:1], v[18:19]
	v_fma_f64 v[16:17], v[8:9], s[8:9], v[18:19]
	v_mul_f64 v[18:19], v[10:11], s[50:51]
	v_add_f64 v[22:23], v[198:199], v[22:23]
	s_delay_alu instid0(VALU_DEP_3) | instskip(NEXT) | instid1(VALU_DEP_3)
	v_add_f64 v[16:17], v[16:17], v[20:21]
	v_fma_f64 v[20:21], v[4:5], s[52:53], v[18:19]
	v_fma_f64 v[18:19], v[4:5], s[52:53], -v[18:19]
	s_delay_alu instid0(VALU_DEP_2) | instskip(SKIP_1) | instid1(VALU_DEP_3)
	v_add_f64 v[20:21], v[20:21], v[26:27]
	v_mul_f64 v[26:27], v[6:7], s[52:53]
	v_add_f64 v[18:19], v[18:19], v[24:25]
	s_delay_alu instid0(VALU_DEP_2) | instskip(SKIP_2) | instid1(VALU_DEP_3)
	v_fma_f64 v[198:199], v[8:9], s[54:55], v[26:27]
	v_fma_f64 v[24:25], v[8:9], s[50:51], v[26:27]
	v_mul_f64 v[26:27], v[10:11], s[16:17]
	v_add_f64 v[32:33], v[198:199], v[32:33]
	s_delay_alu instid0(VALU_DEP_3) | instskip(NEXT) | instid1(VALU_DEP_3)
	;; [unrolled: 13-line block ×3, first 2 shown]
	v_add_f64 v[30:31], v[30:31], v[36:37]
	v_fma_f64 v[36:37], v[4:5], s[42:43], v[34:35]
	v_fma_f64 v[34:35], v[4:5], s[42:43], -v[34:35]
	s_delay_alu instid0(VALU_DEP_2) | instskip(SKIP_1) | instid1(VALU_DEP_3)
	v_add_f64 v[36:37], v[36:37], v[42:43]
	v_mul_f64 v[42:43], v[6:7], s[42:43]
	v_add_f64 v[34:35], v[34:35], v[38:39]
	s_delay_alu instid0(VALU_DEP_2) | instskip(SKIP_1) | instid1(VALU_DEP_2)
	v_fma_f64 v[38:39], v[8:9], s[44:45], v[42:43]
	v_fma_f64 v[232:233], v[8:9], s[46:47], v[42:43]
	v_add_f64 v[38:39], v[38:39], v[40:41]
	v_mul_f64 v[40:41], v[10:11], s[22:23]
	s_delay_alu instid0(VALU_DEP_3) | instskip(NEXT) | instid1(VALU_DEP_2)
	v_add_f64 v[46:47], v[232:233], v[46:47]
	v_fma_f64 v[42:43], v[4:5], s[18:19], v[40:41]
	v_fma_f64 v[40:41], v[4:5], s[18:19], -v[40:41]
	s_delay_alu instid0(VALU_DEP_2) | instskip(SKIP_1) | instid1(VALU_DEP_3)
	v_add_f64 v[42:43], v[42:43], v[50:51]
	v_mul_f64 v[50:51], v[6:7], s[18:19]
	v_add_f64 v[40:41], v[40:41], v[44:45]
	s_delay_alu instid0(VALU_DEP_2) | instskip(SKIP_1) | instid1(VALU_DEP_2)
	v_fma_f64 v[44:45], v[8:9], s[22:23], v[50:51]
	v_fma_f64 v[232:233], v[8:9], s[20:21], v[50:51]
	v_add_f64 v[44:45], v[44:45], v[48:49]
	v_mul_f64 v[48:49], v[10:11], s[38:39]
	s_delay_alu instid0(VALU_DEP_3) | instskip(NEXT) | instid1(VALU_DEP_2)
	v_add_f64 v[54:55], v[232:233], v[54:55]
	v_fma_f64 v[50:51], v[4:5], s[40:41], v[48:49]
	v_fma_f64 v[48:49], v[4:5], s[40:41], -v[48:49]
	s_delay_alu instid0(VALU_DEP_2) | instskip(SKIP_1) | instid1(VALU_DEP_3)
	v_add_f64 v[50:51], v[50:51], v[58:59]
	v_mul_f64 v[58:59], v[6:7], s[40:41]
	v_add_f64 v[48:49], v[48:49], v[52:53]
	s_delay_alu instid0(VALU_DEP_2) | instskip(SKIP_1) | instid1(VALU_DEP_2)
	v_fma_f64 v[52:53], v[8:9], s[38:39], v[58:59]
	v_fma_f64 v[232:233], v[8:9], s[48:49], v[58:59]
	v_add_f64 v[52:53], v[52:53], v[56:57]
	v_mul_f64 v[56:57], v[10:11], s[28:29]
	v_mul_f64 v[10:11], v[10:11], s[34:35]
	s_delay_alu instid0(VALU_DEP_4) | instskip(NEXT) | instid1(VALU_DEP_3)
	v_add_f64 v[62:63], v[232:233], v[62:63]
	v_fma_f64 v[58:59], v[4:5], s[26:27], v[56:57]
	v_fma_f64 v[56:57], v[4:5], s[26:27], -v[56:57]
	s_delay_alu instid0(VALU_DEP_2) | instskip(SKIP_1) | instid1(VALU_DEP_3)
	v_add_f64 v[58:59], v[58:59], v[66:67]
	v_mul_f64 v[66:67], v[6:7], s[26:27]
	v_add_f64 v[56:57], v[56:57], v[60:61]
	v_mul_f64 v[6:7], v[6:7], s[30:31]
	s_delay_alu instid0(VALU_DEP_3) | instskip(SKIP_1) | instid1(VALU_DEP_3)
	v_fma_f64 v[60:61], v[8:9], s[28:29], v[66:67]
	v_fma_f64 v[232:233], v[8:9], s[24:25], v[66:67]
	;; [unrolled: 1-line block ×3, first 2 shown]
	s_delay_alu instid0(VALU_DEP_3)
	v_add_f64 v[60:61], v[60:61], v[64:65]
	v_fma_f64 v[64:65], v[4:5], s[30:31], v[10:11]
	v_fma_f64 v[4:5], v[4:5], s[30:31], -v[10:11]
	v_add_f64 v[10:11], v[226:227], -v[230:231]
	v_add_f64 v[66:67], v[66:67], v[196:197]
	v_add_f64 v[194:195], v[232:233], v[194:195]
	;; [unrolled: 1-line block ×4, first 2 shown]
	v_fma_f64 v[4:5], v[8:9], s[34:35], v[6:7]
	v_mul_f64 v[192:193], v[10:11], s[10:11]
	v_add_f64 v[6:7], v[226:227], v[230:231]
	v_add_f64 v[8:9], v[224:225], -v[228:229]
	s_delay_alu instid0(VALU_DEP_4) | instskip(SKIP_1) | instid1(VALU_DEP_1)
	v_add_f64 v[2:3], v[4:5], v[2:3]
	v_add_f64 v[4:5], v[224:225], v[228:229]
	v_fma_f64 v[196:197], v[4:5], s[14:15], v[192:193]
	v_fma_f64 v[192:193], v[4:5], s[14:15], -v[192:193]
	s_delay_alu instid0(VALU_DEP_2) | instskip(SKIP_1) | instid1(VALU_DEP_3)
	v_add_f64 v[14:15], v[196:197], v[14:15]
	v_mul_f64 v[196:197], v[6:7], s[14:15]
	v_add_f64 v[12:13], v[192:193], v[12:13]
	s_delay_alu instid0(VALU_DEP_2) | instskip(SKIP_1) | instid1(VALU_DEP_2)
	v_fma_f64 v[192:193], v[8:9], s[10:11], v[196:197]
	v_fma_f64 v[224:225], v[8:9], s[16:17], v[196:197]
	v_add_f64 v[16:17], v[192:193], v[16:17]
	v_mul_f64 v[192:193], v[10:11], s[48:49]
	s_delay_alu instid0(VALU_DEP_3) | instskip(NEXT) | instid1(VALU_DEP_2)
	v_add_f64 v[22:23], v[224:225], v[22:23]
	v_fma_f64 v[196:197], v[4:5], s[40:41], v[192:193]
	v_fma_f64 v[192:193], v[4:5], s[40:41], -v[192:193]
	s_delay_alu instid0(VALU_DEP_2) | instskip(SKIP_1) | instid1(VALU_DEP_3)
	v_add_f64 v[20:21], v[196:197], v[20:21]
	v_mul_f64 v[196:197], v[6:7], s[40:41]
	v_add_f64 v[18:19], v[192:193], v[18:19]
	s_delay_alu instid0(VALU_DEP_2) | instskip(SKIP_1) | instid1(VALU_DEP_2)
	v_fma_f64 v[192:193], v[8:9], s[48:49], v[196:197]
	v_fma_f64 v[224:225], v[8:9], s[38:39], v[196:197]
	v_add_f64 v[24:25], v[192:193], v[24:25]
	v_mul_f64 v[192:193], v[10:11], s[34:35]
	s_delay_alu instid0(VALU_DEP_3) | instskip(NEXT) | instid1(VALU_DEP_2)
	;; [unrolled: 13-line block ×5, first 2 shown]
	v_add_f64 v[54:55], v[224:225], v[54:55]
	v_fma_f64 v[196:197], v[4:5], s[2:3], v[192:193]
	v_fma_f64 v[192:193], v[4:5], s[2:3], -v[192:193]
	s_delay_alu instid0(VALU_DEP_2) | instskip(SKIP_1) | instid1(VALU_DEP_3)
	v_add_f64 v[50:51], v[196:197], v[50:51]
	v_mul_f64 v[196:197], v[6:7], s[2:3]
	v_add_f64 v[48:49], v[192:193], v[48:49]
	s_delay_alu instid0(VALU_DEP_2) | instskip(SKIP_1) | instid1(VALU_DEP_2)
	v_fma_f64 v[192:193], v[8:9], s[0:1], v[196:197]
	v_fma_f64 v[224:225], v[8:9], s[8:9], v[196:197]
	v_add_f64 v[52:53], v[192:193], v[52:53]
	v_mul_f64 v[192:193], v[10:11], s[46:47]
	v_mul_f64 v[10:11], v[10:11], s[24:25]
	s_delay_alu instid0(VALU_DEP_4) | instskip(NEXT) | instid1(VALU_DEP_3)
	v_add_f64 v[62:63], v[224:225], v[62:63]
	v_fma_f64 v[196:197], v[4:5], s[42:43], v[192:193]
	v_fma_f64 v[192:193], v[4:5], s[42:43], -v[192:193]
	s_delay_alu instid0(VALU_DEP_2) | instskip(SKIP_1) | instid1(VALU_DEP_3)
	v_add_f64 v[58:59], v[196:197], v[58:59]
	v_mul_f64 v[196:197], v[6:7], s[42:43]
	v_add_f64 v[56:57], v[192:193], v[56:57]
	v_mul_f64 v[6:7], v[6:7], s[26:27]
	s_delay_alu instid0(VALU_DEP_3) | instskip(SKIP_1) | instid1(VALU_DEP_2)
	v_fma_f64 v[192:193], v[8:9], s[46:47], v[196:197]
	v_fma_f64 v[224:225], v[8:9], s[44:45], v[196:197]
	v_add_f64 v[60:61], v[192:193], v[60:61]
	v_fma_f64 v[192:193], v[4:5], s[26:27], v[10:11]
	v_fma_f64 v[4:5], v[4:5], s[26:27], -v[10:11]
	v_add_f64 v[10:11], v[218:219], -v[222:223]
	v_add_f64 v[194:195], v[224:225], v[194:195]
	s_delay_alu instid0(VALU_DEP_4)
	v_add_f64 v[64:65], v[192:193], v[64:65]
	v_fma_f64 v[192:193], v[8:9], s[28:29], v[6:7]
	v_add_f64 v[0:1], v[4:5], v[0:1]
	v_fma_f64 v[4:5], v[8:9], s[24:25], v[6:7]
	v_add_f64 v[6:7], v[218:219], v[222:223]
	v_add_f64 v[8:9], v[216:217], -v[220:221]
	v_add_f64 v[66:67], v[192:193], v[66:67]
	v_mul_f64 v[192:193], v[10:11], s[24:25]
	v_add_f64 v[2:3], v[4:5], v[2:3]
	v_add_f64 v[4:5], v[216:217], v[220:221]
	s_delay_alu instid0(VALU_DEP_1) | instskip(SKIP_1) | instid1(VALU_DEP_2)
	v_fma_f64 v[196:197], v[4:5], s[26:27], v[192:193]
	v_fma_f64 v[192:193], v[4:5], s[26:27], -v[192:193]
	v_add_f64 v[14:15], v[196:197], v[14:15]
	v_mul_f64 v[196:197], v[6:7], s[26:27]
	s_delay_alu instid0(VALU_DEP_3) | instskip(NEXT) | instid1(VALU_DEP_2)
	v_add_f64 v[12:13], v[192:193], v[12:13]
	v_fma_f64 v[192:193], v[8:9], s[24:25], v[196:197]
	v_fma_f64 v[216:217], v[8:9], s[28:29], v[196:197]
	s_delay_alu instid0(VALU_DEP_2) | instskip(SKIP_1) | instid1(VALU_DEP_3)
	v_add_f64 v[16:17], v[192:193], v[16:17]
	v_mul_f64 v[192:193], v[10:11], s[16:17]
	v_add_f64 v[22:23], v[216:217], v[22:23]
	s_delay_alu instid0(VALU_DEP_2) | instskip(SKIP_1) | instid1(VALU_DEP_2)
	v_fma_f64 v[196:197], v[4:5], s[14:15], v[192:193]
	v_fma_f64 v[192:193], v[4:5], s[14:15], -v[192:193]
	v_add_f64 v[20:21], v[196:197], v[20:21]
	v_mul_f64 v[196:197], v[6:7], s[14:15]
	s_delay_alu instid0(VALU_DEP_3) | instskip(NEXT) | instid1(VALU_DEP_2)
	v_add_f64 v[18:19], v[192:193], v[18:19]
	v_fma_f64 v[192:193], v[8:9], s[16:17], v[196:197]
	v_fma_f64 v[216:217], v[8:9], s[10:11], v[196:197]
	s_delay_alu instid0(VALU_DEP_2) | instskip(SKIP_1) | instid1(VALU_DEP_3)
	v_add_f64 v[24:25], v[192:193], v[24:25]
	v_mul_f64 v[192:193], v[10:11], s[46:47]
	v_add_f64 v[32:33], v[216:217], v[32:33]
	s_delay_alu instid0(VALU_DEP_2) | instskip(SKIP_1) | instid1(VALU_DEP_2)
	v_fma_f64 v[196:197], v[4:5], s[42:43], v[192:193]
	v_fma_f64 v[192:193], v[4:5], s[42:43], -v[192:193]
	v_add_f64 v[28:29], v[196:197], v[28:29]
	v_mul_f64 v[196:197], v[6:7], s[42:43]
	s_delay_alu instid0(VALU_DEP_3) | instskip(NEXT) | instid1(VALU_DEP_2)
	v_add_f64 v[26:27], v[192:193], v[26:27]
	v_fma_f64 v[192:193], v[8:9], s[46:47], v[196:197]
	v_fma_f64 v[216:217], v[8:9], s[44:45], v[196:197]
	s_delay_alu instid0(VALU_DEP_2) | instskip(SKIP_1) | instid1(VALU_DEP_3)
	v_add_f64 v[30:31], v[192:193], v[30:31]
	v_mul_f64 v[192:193], v[10:11], s[38:39]
	v_add_f64 v[198:199], v[216:217], v[198:199]
	s_delay_alu instid0(VALU_DEP_2) | instskip(SKIP_1) | instid1(VALU_DEP_2)
	v_fma_f64 v[196:197], v[4:5], s[40:41], v[192:193]
	v_fma_f64 v[192:193], v[4:5], s[40:41], -v[192:193]
	v_add_f64 v[36:37], v[196:197], v[36:37]
	v_mul_f64 v[196:197], v[6:7], s[40:41]
	s_delay_alu instid0(VALU_DEP_3) | instskip(NEXT) | instid1(VALU_DEP_2)
	v_add_f64 v[34:35], v[192:193], v[34:35]
	v_fma_f64 v[192:193], v[8:9], s[38:39], v[196:197]
	v_fma_f64 v[216:217], v[8:9], s[48:49], v[196:197]
	s_delay_alu instid0(VALU_DEP_2) | instskip(SKIP_1) | instid1(VALU_DEP_3)
	v_add_f64 v[38:39], v[192:193], v[38:39]
	v_mul_f64 v[192:193], v[10:11], s[0:1]
	v_add_f64 v[46:47], v[216:217], v[46:47]
	s_delay_alu instid0(VALU_DEP_2) | instskip(SKIP_1) | instid1(VALU_DEP_2)
	v_fma_f64 v[196:197], v[4:5], s[2:3], v[192:193]
	v_fma_f64 v[192:193], v[4:5], s[2:3], -v[192:193]
	v_add_f64 v[42:43], v[196:197], v[42:43]
	v_mul_f64 v[196:197], v[6:7], s[2:3]
	s_delay_alu instid0(VALU_DEP_3) | instskip(NEXT) | instid1(VALU_DEP_2)
	v_add_f64 v[40:41], v[192:193], v[40:41]
	v_fma_f64 v[192:193], v[8:9], s[0:1], v[196:197]
	v_fma_f64 v[216:217], v[8:9], s[8:9], v[196:197]
	s_delay_alu instid0(VALU_DEP_2) | instskip(SKIP_1) | instid1(VALU_DEP_3)
	v_add_f64 v[44:45], v[192:193], v[44:45]
	v_mul_f64 v[192:193], v[10:11], s[36:37]
	v_add_f64 v[54:55], v[216:217], v[54:55]
	s_delay_alu instid0(VALU_DEP_2) | instskip(SKIP_1) | instid1(VALU_DEP_2)
	v_fma_f64 v[196:197], v[4:5], s[30:31], v[192:193]
	v_fma_f64 v[192:193], v[4:5], s[30:31], -v[192:193]
	v_add_f64 v[50:51], v[196:197], v[50:51]
	v_mul_f64 v[196:197], v[6:7], s[30:31]
	s_delay_alu instid0(VALU_DEP_3) | instskip(NEXT) | instid1(VALU_DEP_2)
	v_add_f64 v[48:49], v[192:193], v[48:49]
	v_fma_f64 v[192:193], v[8:9], s[36:37], v[196:197]
	v_fma_f64 v[216:217], v[8:9], s[34:35], v[196:197]
	s_delay_alu instid0(VALU_DEP_2) | instskip(SKIP_2) | instid1(VALU_DEP_4)
	v_add_f64 v[52:53], v[192:193], v[52:53]
	v_mul_f64 v[192:193], v[10:11], s[50:51]
	v_mul_f64 v[10:11], v[10:11], s[20:21]
	v_add_f64 v[62:63], v[216:217], v[62:63]
	s_delay_alu instid0(VALU_DEP_3) | instskip(SKIP_1) | instid1(VALU_DEP_2)
	v_fma_f64 v[196:197], v[4:5], s[52:53], v[192:193]
	v_fma_f64 v[192:193], v[4:5], s[52:53], -v[192:193]
	v_add_f64 v[58:59], v[196:197], v[58:59]
	v_mul_f64 v[196:197], v[6:7], s[52:53]
	s_delay_alu instid0(VALU_DEP_3) | instskip(SKIP_1) | instid1(VALU_DEP_3)
	v_add_f64 v[56:57], v[192:193], v[56:57]
	v_mul_f64 v[6:7], v[6:7], s[18:19]
	v_fma_f64 v[192:193], v[8:9], s[50:51], v[196:197]
	v_fma_f64 v[216:217], v[8:9], s[54:55], v[196:197]
	v_add_f64 v[196:197], v[210:211], -v[214:215]
	s_delay_alu instid0(VALU_DEP_3) | instskip(SKIP_4) | instid1(VALU_DEP_4)
	v_add_f64 v[60:61], v[192:193], v[60:61]
	v_fma_f64 v[192:193], v[4:5], s[18:19], v[10:11]
	v_fma_f64 v[4:5], v[4:5], s[18:19], -v[10:11]
	v_add_f64 v[10:11], v[210:211], v[214:215]
	v_add_f64 v[194:195], v[216:217], v[194:195]
	;; [unrolled: 1-line block ×3, first 2 shown]
	v_fma_f64 v[192:193], v[8:9], s[22:23], v[6:7]
	v_add_f64 v[4:5], v[4:5], v[0:1]
	v_fma_f64 v[0:1], v[8:9], s[20:21], v[6:7]
	v_add_f64 v[8:9], v[208:209], v[212:213]
	s_delay_alu instid0(VALU_DEP_4) | instskip(SKIP_3) | instid1(VALU_DEP_2)
	v_add_f64 v[66:67], v[192:193], v[66:67]
	v_add_f64 v[192:193], v[208:209], -v[212:213]
	v_mul_f64 v[208:209], v[196:197], s[38:39]
	v_add_f64 v[6:7], v[0:1], v[2:3]
	v_fma_f64 v[0:1], v[8:9], s[40:41], v[208:209]
	s_delay_alu instid0(VALU_DEP_1) | instskip(SKIP_1) | instid1(VALU_DEP_1)
	v_add_f64 v[0:1], v[0:1], v[14:15]
	v_mul_f64 v[14:15], v[10:11], s[40:41]
	v_fma_f64 v[2:3], v[192:193], s[48:49], v[14:15]
	s_delay_alu instid0(VALU_DEP_1) | instskip(SKIP_1) | instid1(VALU_DEP_1)
	v_add_f64 v[2:3], v[2:3], v[22:23]
	v_fma_f64 v[22:23], v[8:9], s[40:41], -v[208:209]
	v_add_f64 v[248:249], v[22:23], v[12:13]
	v_fma_f64 v[12:13], v[192:193], s[38:39], v[14:15]
	s_delay_alu instid0(VALU_DEP_1) | instskip(SKIP_1) | instid1(VALU_DEP_1)
	v_add_f64 v[254:255], v[12:13], v[16:17]
	v_mul_f64 v[12:13], v[196:197], s[20:21]
	v_fma_f64 v[14:15], v[8:9], s[18:19], v[12:13]
	v_fma_f64 v[12:13], v[8:9], s[18:19], -v[12:13]
	s_delay_alu instid0(VALU_DEP_2) | instskip(SKIP_1) | instid1(VALU_DEP_3)
	v_add_f64 v[212:213], v[14:15], v[20:21]
	v_mul_f64 v[14:15], v[10:11], s[18:19]
	v_add_f64 v[208:209], v[12:13], v[18:19]
	s_delay_alu instid0(VALU_DEP_2) | instskip(SKIP_1) | instid1(VALU_DEP_2)
	v_fma_f64 v[12:13], v[192:193], s[20:21], v[14:15]
	v_fma_f64 v[16:17], v[192:193], s[22:23], v[14:15]
	v_add_f64 v[210:211], v[12:13], v[24:25]
	v_mul_f64 v[12:13], v[196:197], s[8:9]
	s_delay_alu instid0(VALU_DEP_3) | instskip(NEXT) | instid1(VALU_DEP_2)
	v_add_f64 v[214:215], v[16:17], v[32:33]
	v_fma_f64 v[14:15], v[8:9], s[2:3], v[12:13]
	v_fma_f64 v[12:13], v[8:9], s[2:3], -v[12:13]
	s_delay_alu instid0(VALU_DEP_2) | instskip(SKIP_1) | instid1(VALU_DEP_3)
	v_add_f64 v[220:221], v[14:15], v[28:29]
	v_mul_f64 v[14:15], v[10:11], s[2:3]
	v_add_f64 v[216:217], v[12:13], v[26:27]
	s_delay_alu instid0(VALU_DEP_2) | instskip(SKIP_1) | instid1(VALU_DEP_2)
	v_fma_f64 v[12:13], v[192:193], s[8:9], v[14:15]
	v_fma_f64 v[16:17], v[192:193], s[0:1], v[14:15]
	v_add_f64 v[218:219], v[12:13], v[30:31]
	v_mul_f64 v[12:13], v[196:197], s[28:29]
	s_delay_alu instid0(VALU_DEP_3) | instskip(NEXT) | instid1(VALU_DEP_2)
	v_add_f64 v[222:223], v[16:17], v[198:199]
	;; [unrolled: 13-line block ×5, first 2 shown]
	v_fma_f64 v[14:15], v[8:9], s[30:31], v[12:13]
	v_fma_f64 v[12:13], v[8:9], s[30:31], -v[12:13]
	s_delay_alu instid0(VALU_DEP_2) | instskip(SKIP_1) | instid1(VALU_DEP_3)
	v_add_f64 v[22:23], v[14:15], v[58:59]
	v_mul_f64 v[14:15], v[10:11], s[30:31]
	v_add_f64 v[20:21], v[12:13], v[56:57]
	v_mul_f64 v[10:11], v[10:11], s[14:15]
	s_delay_alu instid0(VALU_DEP_3) | instskip(SKIP_1) | instid1(VALU_DEP_2)
	v_fma_f64 v[16:17], v[192:193], s[36:37], v[14:15]
	v_fma_f64 v[12:13], v[192:193], s[34:35], v[14:15]
	v_add_f64 v[30:31], v[16:17], v[194:195]
	s_delay_alu instid0(VALU_DEP_2) | instskip(SKIP_1) | instid1(VALU_DEP_1)
	v_add_f64 v[16:17], v[12:13], v[60:61]
	v_mul_f64 v[12:13], v[196:197], s[10:11]
	v_fma_f64 v[14:15], v[8:9], s[14:15], v[12:13]
	v_fma_f64 v[8:9], v[8:9], s[14:15], -v[12:13]
	v_mul_f64 v[12:13], v[242:243], s[10:11]
	s_delay_alu instid0(VALU_DEP_3) | instskip(NEXT) | instid1(VALU_DEP_3)
	v_add_f64 v[18:19], v[14:15], v[64:65]
	v_add_f64 v[26:27], v[8:9], v[4:5]
	v_fma_f64 v[4:5], v[192:193], s[10:11], v[10:11]
	v_fma_f64 v[14:15], v[192:193], s[16:17], v[10:11]
	;; [unrolled: 1-line block ×3, first 2 shown]
	v_fma_f64 v[12:13], v[244:245], s[14:15], -v[12:13]
	s_delay_alu instid0(VALU_DEP_4)
	v_add_f64 v[24:25], v[4:5], v[6:7]
	v_mul_f64 v[4:5], v[242:243], s[50:51]
	v_add_f64 v[28:29], v[14:15], v[66:67]
	v_mul_f64 v[14:15], v[240:241], s[14:15]
	;; [unrolled: 2-line block ×4, first 2 shown]
	v_fma_f64 v[6:7], v[244:245], s[52:53], v[4:5]
	v_fma_f64 v[10:11], v[250:251], s[16:17], v[14:15]
	;; [unrolled: 1-line block ×3, first 2 shown]
	s_delay_alu instid0(VALU_DEP_3) | instskip(SKIP_1) | instid1(VALU_DEP_4)
	v_add_f64 v[204:205], v[6:7], v[0:1]
	v_mul_f64 v[0:1], v[240:241], s[52:53]
	v_add_f64 v[10:11], v[10:11], v[30:31]
	s_delay_alu instid0(VALU_DEP_4) | instskip(SKIP_4) | instid1(VALU_DEP_4)
	v_add_f64 v[14:15], v[14:15], v[16:17]
	v_fma_f64 v[16:17], v[244:245], s[2:3], v[20:21]
	v_fma_f64 v[20:21], v[244:245], s[2:3], -v[20:21]
	v_fma_f64 v[6:7], v[250:251], s[54:55], v[0:1]
	v_fma_f64 v[0:1], v[250:251], s[50:51], v[0:1]
	v_add_f64 v[16:17], v[16:17], v[18:19]
	v_fma_f64 v[18:19], v[250:251], s[8:9], v[22:23]
	v_fma_f64 v[22:23], v[250:251], s[0:1], v[22:23]
	v_add_f64 v[20:21], v[20:21], v[26:27]
	v_add_f64 v[206:207], v[6:7], v[2:3]
	v_fma_f64 v[2:3], v[244:245], s[52:53], -v[4:5]
	v_add_f64 v[202:203], v[0:1], v[254:255]
	v_mul_f64 v[0:1], v[242:243], s[44:45]
	v_mul_f64 v[6:7], v[240:241], s[18:19]
	v_add_f64 v[22:23], v[22:23], v[24:25]
	scratch_load_b128 v[24:27], off, off offset:300 ; 16-byte Folded Reload
	v_add_f64 v[18:19], v[18:19], v[28:29]
	v_add_f64 v[200:201], v[2:3], v[248:249]
	v_fma_f64 v[2:3], v[244:245], s[42:43], v[0:1]
	v_fma_f64 v[0:1], v[244:245], s[42:43], -v[0:1]
	s_delay_alu instid0(VALU_DEP_2) | instskip(SKIP_1) | instid1(VALU_DEP_3)
	v_add_f64 v[212:213], v[2:3], v[212:213]
	v_mul_f64 v[2:3], v[240:241], s[42:43]
	v_add_f64 v[208:209], v[0:1], v[208:209]
	s_delay_alu instid0(VALU_DEP_2) | instskip(SKIP_1) | instid1(VALU_DEP_2)
	v_fma_f64 v[0:1], v[250:251], s[44:45], v[2:3]
	v_fma_f64 v[4:5], v[250:251], s[46:47], v[2:3]
	v_add_f64 v[210:211], v[0:1], v[210:211]
	v_mul_f64 v[0:1], v[242:243], s[38:39]
	s_delay_alu instid0(VALU_DEP_3) | instskip(NEXT) | instid1(VALU_DEP_2)
	v_add_f64 v[214:215], v[4:5], v[214:215]
	v_fma_f64 v[2:3], v[244:245], s[40:41], v[0:1]
	v_fma_f64 v[0:1], v[244:245], s[40:41], -v[0:1]
	s_delay_alu instid0(VALU_DEP_2) | instskip(SKIP_1) | instid1(VALU_DEP_3)
	v_add_f64 v[220:221], v[2:3], v[220:221]
	v_mul_f64 v[2:3], v[240:241], s[40:41]
	v_add_f64 v[216:217], v[0:1], v[216:217]
	s_delay_alu instid0(VALU_DEP_2) | instskip(SKIP_1) | instid1(VALU_DEP_2)
	v_fma_f64 v[0:1], v[250:251], s[38:39], v[2:3]
	v_fma_f64 v[4:5], v[250:251], s[48:49], v[2:3]
	v_add_f64 v[218:219], v[0:1], v[218:219]
	v_mul_f64 v[0:1], v[242:243], s[34:35]
	s_delay_alu instid0(VALU_DEP_3) | instskip(NEXT) | instid1(VALU_DEP_2)
	;; [unrolled: 13-line block ×3, first 2 shown]
	v_add_f64 v[230:231], v[4:5], v[230:231]
	v_fma_f64 v[2:3], v[244:245], s[26:27], v[0:1]
	v_fma_f64 v[0:1], v[244:245], s[26:27], -v[0:1]
	s_delay_alu instid0(VALU_DEP_2) | instskip(SKIP_1) | instid1(VALU_DEP_3)
	v_add_f64 v[236:237], v[2:3], v[236:237]
	v_mul_f64 v[2:3], v[240:241], s[26:27]
	v_add_f64 v[232:233], v[0:1], v[232:233]
	s_delay_alu instid0(VALU_DEP_2) | instskip(SKIP_3) | instid1(VALU_DEP_4)
	v_fma_f64 v[4:5], v[250:251], s[28:29], v[2:3]
	v_fma_f64 v[0:1], v[250:251], s[24:25], v[2:3]
	;; [unrolled: 1-line block ×4, first 2 shown]
	v_add_f64 v[238:239], v[4:5], v[238:239]
	v_mul_f64 v[4:5], v[242:243], s[20:21]
	v_add_f64 v[234:235], v[0:1], v[234:235]
	v_add_f64 v[2:3], v[2:3], v[38:39]
	;; [unrolled: 1-line block ×3, first 2 shown]
	s_delay_alu instid0(VALU_DEP_4) | instskip(SKIP_1) | instid1(VALU_DEP_2)
	v_fma_f64 v[0:1], v[244:245], s[18:19], v[4:5]
	v_fma_f64 v[4:5], v[244:245], s[18:19], -v[4:5]
	v_add_f64 v[0:1], v[0:1], v[36:37]
	s_delay_alu instid0(VALU_DEP_2)
	v_add_f64 v[4:5], v[4:5], v[34:35]
	s_waitcnt vmcnt(0)
	ds_store_b128 v247, v[24:27]
	ds_store_b128 v247, v[204:207] offset:16
	ds_store_b128 v247, v[212:215] offset:32
	;; [unrolled: 1-line block ×16, first 2 shown]
	s_waitcnt lgkmcnt(0)
	s_barrier
	buffer_gl0_inv
	ds_load_b128 v[196:199], v246
	ds_load_b128 v[0:3], v246 offset:1632
	ds_load_b128 v[4:7], v246 offset:3264
	;; [unrolled: 1-line block ×16, first 2 shown]
	s_waitcnt lgkmcnt(0)
	s_barrier
	buffer_gl0_inv
	v_mul_f64 v[28:29], v[98:99], v[2:3]
	s_delay_alu instid0(VALU_DEP_1) | instskip(SKIP_1) | instid1(VALU_DEP_1)
	v_fma_f64 v[28:29], v[96:97], v[0:1], v[28:29]
	v_mul_f64 v[0:1], v[98:99], v[0:1]
	v_fma_f64 v[30:31], v[96:97], v[2:3], -v[0:1]
	v_mul_f64 v[0:1], v[82:83], v[6:7]
	v_mul_f64 v[2:3], v[90:91], v[214:215]
	s_delay_alu instid0(VALU_DEP_2) | instskip(SKIP_2) | instid1(VALU_DEP_2)
	v_fma_f64 v[212:213], v[80:81], v[4:5], v[0:1]
	v_mul_f64 v[0:1], v[82:83], v[4:5]
	v_mul_f64 v[4:5], v[114:115], v[226:227]
	v_fma_f64 v[210:211], v[80:81], v[6:7], -v[0:1]
	v_mul_f64 v[0:1], v[78:79], v[10:11]
	v_fma_f64 v[80:81], v[88:89], v[216:217], -v[2:3]
	;; [unrolled: 2-line block ×3, first 2 shown]
	v_mul_f64 v[4:5], v[106:107], v[232:233]
	v_mul_f64 v[6:7], v[118:119], v[247:248]
	v_fma_f64 v[208:209], v[76:77], v[8:9], v[0:1]
	v_mul_f64 v[0:1], v[78:79], v[8:9]
	v_mul_f64 v[8:9], v[70:71], v[24:25]
	s_delay_alu instid0(VALU_DEP_2)
	v_fma_f64 v[206:207], v[76:77], v[10:11], -v[0:1]
	v_mul_f64 v[0:1], v[74:75], v[14:15]
	v_add_f64 v[10:11], v[196:197], v[28:29]
	v_fma_f64 v[76:77], v[84:85], v[218:219], v[2:3]
	v_mul_f64 v[2:3], v[86:87], v[218:219]
	v_fma_f64 v[86:87], v[104:105], v[230:231], v[4:5]
	v_mul_f64 v[4:5], v[106:107], v[230:231]
	v_fma_f64 v[8:9], v[68:69], v[26:27], -v[8:9]
	v_fma_f64 v[204:205], v[72:73], v[12:13], v[0:1]
	v_mul_f64 v[0:1], v[74:75], v[12:13]
	v_add_f64 v[12:13], v[198:199], v[30:31]
	v_add_f64 v[10:11], v[10:11], v[212:213]
	s_delay_alu instid0(VALU_DEP_3) | instskip(SKIP_1) | instid1(VALU_DEP_4)
	v_fma_f64 v[202:203], v[72:73], v[14:15], -v[0:1]
	v_mul_f64 v[0:1], v[110:111], v[18:19]
	v_add_f64 v[12:13], v[12:13], v[210:211]
	s_delay_alu instid0(VALU_DEP_4)
	v_add_f64 v[10:11], v[10:11], v[208:209]
	v_fma_f64 v[72:73], v[84:85], v[220:221], -v[2:3]
	v_mul_f64 v[2:3], v[122:123], v[224:225]
	v_fma_f64 v[84:85], v[104:105], v[232:233], -v[4:5]
	v_mul_f64 v[4:5], v[94:95], v[236:237]
	;; [unrolled: 2-line block ×3, first 2 shown]
	v_fma_f64 v[200:201], v[108:109], v[16:17], v[0:1]
	v_mul_f64 v[0:1], v[110:111], v[16:17]
	v_add_f64 v[12:13], v[12:13], v[206:207]
	v_add_f64 v[10:11], v[10:11], v[204:205]
	v_fma_f64 v[78:79], v[120:121], v[222:223], v[2:3]
	v_mul_f64 v[2:3], v[122:123], v[222:223]
	v_fma_f64 v[6:7], v[68:69], v[24:25], v[6:7]
	v_fma_f64 v[108:109], v[108:109], v[18:19], -v[0:1]
	v_mul_f64 v[0:1], v[102:103], v[22:23]
	v_add_f64 v[12:13], v[12:13], v[202:203]
	v_add_f64 v[10:11], v[10:11], v[200:201]
	v_fma_f64 v[74:75], v[120:121], v[224:225], -v[2:3]
	v_mul_f64 v[2:3], v[114:115], v[228:229]
	v_fma_f64 v[98:99], v[100:101], v[20:21], v[0:1]
	v_mul_f64 v[0:1], v[102:103], v[20:21]
	v_add_f64 v[12:13], v[12:13], v[108:109]
	v_add_f64 v[120:121], v[72:73], v[74:75]
	v_fma_f64 v[2:3], v[112:113], v[226:227], v[2:3]
	v_add_f64 v[10:11], v[10:11], v[98:99]
	v_fma_f64 v[96:97], v[100:101], v[22:23], -v[0:1]
	v_mul_f64 v[0:1], v[90:91], v[216:217]
	v_fma_f64 v[90:91], v[92:93], v[234:235], v[4:5]
	v_mul_f64 v[4:5], v[94:95], v[234:235]
	s_delay_alu instid0(VALU_DEP_4) | instskip(NEXT) | instid1(VALU_DEP_4)
	v_add_f64 v[12:13], v[12:13], v[96:97]
	v_fma_f64 v[0:1], v[88:89], v[214:215], v[0:1]
	s_delay_alu instid0(VALU_DEP_3) | instskip(SKIP_1) | instid1(VALU_DEP_4)
	v_fma_f64 v[88:89], v[92:93], v[236:237], -v[4:5]
	v_mul_f64 v[4:5], v[130:131], v[240:241]
	v_add_f64 v[12:13], v[12:13], v[80:81]
	s_delay_alu instid0(VALU_DEP_4) | instskip(NEXT) | instid1(VALU_DEP_3)
	v_add_f64 v[10:11], v[10:11], v[0:1]
	v_fma_f64 v[94:95], v[128:129], v[238:239], v[4:5]
	v_mul_f64 v[4:5], v[130:131], v[238:239]
	v_add_f64 v[130:131], v[72:73], -v[74:75]
	v_add_f64 v[12:13], v[12:13], v[72:73]
	v_add_f64 v[10:11], v[10:11], v[76:77]
	s_delay_alu instid0(VALU_DEP_4) | instskip(SKIP_1) | instid1(VALU_DEP_4)
	v_fma_f64 v[92:93], v[128:129], v[240:241], -v[4:5]
	v_mul_f64 v[4:5], v[126:127], v[244:245]
	v_add_f64 v[12:13], v[12:13], v[74:75]
	s_delay_alu instid0(VALU_DEP_4) | instskip(NEXT) | instid1(VALU_DEP_3)
	v_add_f64 v[10:11], v[10:11], v[78:79]
	v_fma_f64 v[102:103], v[124:125], v[242:243], v[4:5]
	v_mul_f64 v[4:5], v[126:127], v[242:243]
	s_delay_alu instid0(VALU_DEP_4) | instskip(NEXT) | instid1(VALU_DEP_4)
	v_add_f64 v[12:13], v[12:13], v[82:83]
	v_add_f64 v[10:11], v[10:11], v[2:3]
	s_delay_alu instid0(VALU_DEP_3) | instskip(SKIP_1) | instid1(VALU_DEP_4)
	v_fma_f64 v[100:101], v[124:125], v[244:245], -v[4:5]
	v_mul_f64 v[4:5], v[118:119], v[249:250]
	v_add_f64 v[12:13], v[12:13], v[84:85]
	s_delay_alu instid0(VALU_DEP_4) | instskip(NEXT) | instid1(VALU_DEP_3)
	v_add_f64 v[10:11], v[10:11], v[86:87]
	v_fma_f64 v[4:5], v[116:117], v[247:248], v[4:5]
	s_delay_alu instid0(VALU_DEP_3) | instskip(NEXT) | instid1(VALU_DEP_3)
	v_add_f64 v[12:13], v[12:13], v[88:89]
	v_add_f64 v[10:11], v[10:11], v[90:91]
	s_delay_alu instid0(VALU_DEP_2) | instskip(NEXT) | instid1(VALU_DEP_2)
	v_add_f64 v[12:13], v[12:13], v[92:93]
	v_add_f64 v[10:11], v[10:11], v[94:95]
	s_delay_alu instid0(VALU_DEP_2) | instskip(NEXT) | instid1(VALU_DEP_2)
	;; [unrolled: 3-line block ×3, first 2 shown]
	v_add_f64 v[12:13], v[12:13], v[104:105]
	v_add_f64 v[10:11], v[10:11], v[4:5]
	s_delay_alu instid0(VALU_DEP_2) | instskip(SKIP_1) | instid1(VALU_DEP_3)
	v_add_f64 v[70:71], v[12:13], v[8:9]
	v_add_f64 v[12:13], v[30:31], v[8:9]
	;; [unrolled: 1-line block ×4, first 2 shown]
	v_add_f64 v[6:7], v[28:29], -v[6:7]
	v_add_f64 v[8:9], v[30:31], -v[8:9]
	v_mul_f64 v[18:19], v[12:13], s[42:43]
	v_mul_f64 v[26:27], v[12:13], s[30:31]
	;; [unrolled: 1-line block ×16, first 2 shown]
	v_fma_f64 v[20:21], v[6:7], s[44:45], v[18:19]
	v_fma_f64 v[18:19], v[6:7], s[46:47], v[18:19]
	;; [unrolled: 1-line block ×16, first 2 shown]
	v_add_f64 v[12:13], v[210:211], v[104:105]
	v_add_f64 v[104:105], v[210:211], -v[104:105]
	v_fma_f64 v[16:17], v[10:11], s[42:43], v[14:15]
	v_fma_f64 v[14:15], v[10:11], s[42:43], -v[14:15]
	v_fma_f64 v[24:25], v[10:11], s[30:31], v[22:23]
	v_fma_f64 v[22:23], v[10:11], s[30:31], -v[22:23]
	;; [unrolled: 2-line block ×8, first 2 shown]
	v_add_f64 v[10:11], v[212:213], v[4:5]
	v_add_f64 v[4:5], v[212:213], -v[4:5]
	v_add_f64 v[20:21], v[198:199], v[20:21]
	v_add_f64 v[18:19], v[198:199], v[18:19]
	;; [unrolled: 1-line block ×16, first 2 shown]
	v_mul_f64 v[114:115], v[104:105], s[36:37]
	v_add_f64 v[16:17], v[196:197], v[16:17]
	v_add_f64 v[14:15], v[196:197], v[14:15]
	;; [unrolled: 1-line block ×16, first 2 shown]
	v_fma_f64 v[116:117], v[10:11], s[30:31], v[114:115]
	v_fma_f64 v[114:115], v[10:11], s[30:31], -v[114:115]
	s_delay_alu instid0(VALU_DEP_2) | instskip(SKIP_1) | instid1(VALU_DEP_3)
	v_add_f64 v[16:17], v[116:117], v[16:17]
	v_mul_f64 v[116:117], v[12:13], s[30:31]
	v_add_f64 v[14:15], v[114:115], v[14:15]
	s_delay_alu instid0(VALU_DEP_2) | instskip(SKIP_1) | instid1(VALU_DEP_2)
	v_fma_f64 v[114:115], v[4:5], s[36:37], v[116:117]
	v_fma_f64 v[118:119], v[4:5], s[34:35], v[116:117]
	v_add_f64 v[18:19], v[114:115], v[18:19]
	v_mul_f64 v[114:115], v[104:105], s[8:9]
	s_delay_alu instid0(VALU_DEP_3) | instskip(NEXT) | instid1(VALU_DEP_2)
	v_add_f64 v[20:21], v[118:119], v[20:21]
	v_fma_f64 v[116:117], v[10:11], s[2:3], v[114:115]
	v_fma_f64 v[114:115], v[10:11], s[2:3], -v[114:115]
	s_delay_alu instid0(VALU_DEP_2) | instskip(SKIP_1) | instid1(VALU_DEP_3)
	v_add_f64 v[24:25], v[116:117], v[24:25]
	v_mul_f64 v[116:117], v[12:13], s[2:3]
	v_add_f64 v[22:23], v[114:115], v[22:23]
	s_delay_alu instid0(VALU_DEP_2) | instskip(SKIP_1) | instid1(VALU_DEP_2)
	v_fma_f64 v[114:115], v[4:5], s[8:9], v[116:117]
	v_fma_f64 v[118:119], v[4:5], s[0:1], v[116:117]
	v_add_f64 v[26:27], v[114:115], v[26:27]
	v_mul_f64 v[114:115], v[104:105], s[24:25]
	s_delay_alu instid0(VALU_DEP_3) | instskip(NEXT) | instid1(VALU_DEP_2)
	v_add_f64 v[28:29], v[118:119], v[28:29]
	;; [unrolled: 13-line block ×5, first 2 shown]
	v_fma_f64 v[116:117], v[10:11], s[14:15], v[114:115]
	v_fma_f64 v[114:115], v[10:11], s[14:15], -v[114:115]
	s_delay_alu instid0(VALU_DEP_2) | instskip(SKIP_1) | instid1(VALU_DEP_3)
	v_add_f64 v[56:57], v[116:117], v[56:57]
	v_mul_f64 v[116:117], v[12:13], s[14:15]
	v_add_f64 v[54:55], v[114:115], v[54:55]
	s_delay_alu instid0(VALU_DEP_2) | instskip(SKIP_1) | instid1(VALU_DEP_2)
	v_fma_f64 v[114:115], v[4:5], s[16:17], v[116:117]
	v_fma_f64 v[118:119], v[4:5], s[10:11], v[116:117]
	v_add_f64 v[58:59], v[114:115], v[58:59]
	v_mul_f64 v[114:115], v[104:105], s[20:21]
	v_mul_f64 v[104:105], v[104:105], s[44:45]
	s_delay_alu instid0(VALU_DEP_4) | instskip(NEXT) | instid1(VALU_DEP_3)
	v_add_f64 v[60:61], v[118:119], v[60:61]
	v_fma_f64 v[116:117], v[10:11], s[18:19], v[114:115]
	v_fma_f64 v[114:115], v[10:11], s[18:19], -v[114:115]
	s_delay_alu instid0(VALU_DEP_2) | instskip(SKIP_1) | instid1(VALU_DEP_3)
	v_add_f64 v[64:65], v[116:117], v[64:65]
	v_mul_f64 v[116:117], v[12:13], s[18:19]
	v_add_f64 v[62:63], v[114:115], v[62:63]
	v_mul_f64 v[12:13], v[12:13], s[42:43]
	s_delay_alu instid0(VALU_DEP_3) | instskip(SKIP_1) | instid1(VALU_DEP_2)
	v_fma_f64 v[114:115], v[4:5], s[20:21], v[116:117]
	v_fma_f64 v[118:119], v[4:5], s[22:23], v[116:117]
	v_add_f64 v[66:67], v[114:115], v[66:67]
	v_fma_f64 v[114:115], v[10:11], s[42:43], v[104:105]
	v_fma_f64 v[10:11], v[10:11], s[42:43], -v[104:105]
	s_delay_alu instid0(VALU_DEP_4) | instskip(NEXT) | instid1(VALU_DEP_3)
	v_add_f64 v[106:107], v[118:119], v[106:107]
	v_add_f64 v[110:111], v[114:115], v[110:111]
	v_fma_f64 v[114:115], v[4:5], s[46:47], v[12:13]
	s_delay_alu instid0(VALU_DEP_4)
	v_add_f64 v[8:9], v[10:11], v[8:9]
	v_fma_f64 v[4:5], v[4:5], s[44:45], v[12:13]
	v_add_f64 v[10:11], v[206:207], v[100:101]
	v_add_f64 v[100:101], v[206:207], -v[100:101]
	v_add_f64 v[12:13], v[208:209], -v[102:103]
	v_add_f64 v[112:113], v[114:115], v[112:113]
	v_add_f64 v[4:5], v[4:5], v[6:7]
	;; [unrolled: 1-line block ×3, first 2 shown]
	v_mul_f64 v[102:103], v[100:101], s[22:23]
	s_delay_alu instid0(VALU_DEP_1) | instskip(SKIP_1) | instid1(VALU_DEP_2)
	v_fma_f64 v[104:105], v[6:7], s[18:19], v[102:103]
	v_fma_f64 v[102:103], v[6:7], s[18:19], -v[102:103]
	v_add_f64 v[16:17], v[104:105], v[16:17]
	v_mul_f64 v[104:105], v[10:11], s[18:19]
	s_delay_alu instid0(VALU_DEP_3) | instskip(NEXT) | instid1(VALU_DEP_2)
	v_add_f64 v[14:15], v[102:103], v[14:15]
	v_fma_f64 v[102:103], v[12:13], s[22:23], v[104:105]
	v_fma_f64 v[114:115], v[12:13], s[20:21], v[104:105]
	s_delay_alu instid0(VALU_DEP_2) | instskip(SKIP_1) | instid1(VALU_DEP_3)
	v_add_f64 v[18:19], v[102:103], v[18:19]
	v_mul_f64 v[102:103], v[100:101], s[24:25]
	v_add_f64 v[20:21], v[114:115], v[20:21]
	s_delay_alu instid0(VALU_DEP_2) | instskip(SKIP_1) | instid1(VALU_DEP_2)
	v_fma_f64 v[104:105], v[6:7], s[26:27], v[102:103]
	v_fma_f64 v[102:103], v[6:7], s[26:27], -v[102:103]
	v_add_f64 v[24:25], v[104:105], v[24:25]
	v_mul_f64 v[104:105], v[10:11], s[26:27]
	s_delay_alu instid0(VALU_DEP_3) | instskip(NEXT) | instid1(VALU_DEP_2)
	v_add_f64 v[22:23], v[102:103], v[22:23]
	v_fma_f64 v[102:103], v[12:13], s[24:25], v[104:105]
	v_fma_f64 v[114:115], v[12:13], s[28:29], v[104:105]
	s_delay_alu instid0(VALU_DEP_2) | instskip(SKIP_1) | instid1(VALU_DEP_3)
	v_add_f64 v[26:27], v[102:103], v[26:27]
	v_mul_f64 v[102:103], v[100:101], s[54:55]
	v_add_f64 v[28:29], v[114:115], v[28:29]
	s_delay_alu instid0(VALU_DEP_2) | instskip(SKIP_1) | instid1(VALU_DEP_2)
	;; [unrolled: 13-line block ×5, first 2 shown]
	v_fma_f64 v[104:105], v[6:7], s[42:43], v[102:103]
	v_fma_f64 v[102:103], v[6:7], s[42:43], -v[102:103]
	v_add_f64 v[56:57], v[104:105], v[56:57]
	v_mul_f64 v[104:105], v[10:11], s[42:43]
	s_delay_alu instid0(VALU_DEP_3) | instskip(NEXT) | instid1(VALU_DEP_2)
	v_add_f64 v[54:55], v[102:103], v[54:55]
	v_fma_f64 v[102:103], v[12:13], s[46:47], v[104:105]
	v_fma_f64 v[114:115], v[12:13], s[44:45], v[104:105]
	s_delay_alu instid0(VALU_DEP_2) | instskip(SKIP_2) | instid1(VALU_DEP_4)
	v_add_f64 v[58:59], v[102:103], v[58:59]
	v_mul_f64 v[102:103], v[100:101], s[8:9]
	v_mul_f64 v[100:101], v[100:101], s[38:39]
	v_add_f64 v[60:61], v[114:115], v[60:61]
	s_delay_alu instid0(VALU_DEP_3) | instskip(SKIP_1) | instid1(VALU_DEP_2)
	v_fma_f64 v[104:105], v[6:7], s[2:3], v[102:103]
	v_fma_f64 v[102:103], v[6:7], s[2:3], -v[102:103]
	v_add_f64 v[64:65], v[104:105], v[64:65]
	v_mul_f64 v[104:105], v[10:11], s[2:3]
	s_delay_alu instid0(VALU_DEP_3) | instskip(SKIP_1) | instid1(VALU_DEP_3)
	v_add_f64 v[62:63], v[102:103], v[62:63]
	v_mul_f64 v[10:11], v[10:11], s[40:41]
	v_fma_f64 v[102:103], v[12:13], s[8:9], v[104:105]
	v_fma_f64 v[114:115], v[12:13], s[0:1], v[104:105]
	s_delay_alu instid0(VALU_DEP_3) | instskip(NEXT) | instid1(VALU_DEP_3)
	v_fma_f64 v[104:105], v[12:13], s[48:49], v[10:11]
	v_add_f64 v[66:67], v[102:103], v[66:67]
	v_fma_f64 v[102:103], v[6:7], s[40:41], v[100:101]
	v_fma_f64 v[6:7], v[6:7], s[40:41], -v[100:101]
	s_delay_alu instid0(VALU_DEP_4)
	v_add_f64 v[104:105], v[104:105], v[112:113]
	v_add_f64 v[106:107], v[114:115], v[106:107]
	;; [unrolled: 1-line block ×3, first 2 shown]
	v_add_f64 v[112:113], v[76:77], -v[78:79]
	v_add_f64 v[102:103], v[102:103], v[110:111]
	v_add_f64 v[6:7], v[6:7], v[8:9]
	v_fma_f64 v[8:9], v[12:13], s[38:39], v[10:11]
	v_add_f64 v[10:11], v[202:203], v[92:93]
	v_add_f64 v[92:93], v[202:203], -v[92:93]
	v_add_f64 v[12:13], v[204:205], -v[94:95]
	s_delay_alu instid0(VALU_DEP_4) | instskip(SKIP_1) | instid1(VALU_DEP_4)
	v_add_f64 v[4:5], v[8:9], v[4:5]
	v_add_f64 v[8:9], v[204:205], v[94:95]
	v_mul_f64 v[94:95], v[92:93], s[8:9]
	s_delay_alu instid0(VALU_DEP_1) | instskip(SKIP_1) | instid1(VALU_DEP_2)
	v_fma_f64 v[100:101], v[8:9], s[2:3], v[94:95]
	v_fma_f64 v[94:95], v[8:9], s[2:3], -v[94:95]
	v_add_f64 v[16:17], v[100:101], v[16:17]
	v_mul_f64 v[100:101], v[10:11], s[2:3]
	s_delay_alu instid0(VALU_DEP_3) | instskip(NEXT) | instid1(VALU_DEP_2)
	v_add_f64 v[14:15], v[94:95], v[14:15]
	v_fma_f64 v[94:95], v[12:13], s[8:9], v[100:101]
	v_fma_f64 v[110:111], v[12:13], s[0:1], v[100:101]
	s_delay_alu instid0(VALU_DEP_2) | instskip(SKIP_1) | instid1(VALU_DEP_3)
	v_add_f64 v[18:19], v[94:95], v[18:19]
	v_mul_f64 v[94:95], v[92:93], s[50:51]
	v_add_f64 v[20:21], v[110:111], v[20:21]
	s_delay_alu instid0(VALU_DEP_2) | instskip(SKIP_1) | instid1(VALU_DEP_2)
	v_fma_f64 v[100:101], v[8:9], s[52:53], v[94:95]
	v_fma_f64 v[94:95], v[8:9], s[52:53], -v[94:95]
	v_add_f64 v[24:25], v[100:101], v[24:25]
	v_mul_f64 v[100:101], v[10:11], s[52:53]
	s_delay_alu instid0(VALU_DEP_3) | instskip(NEXT) | instid1(VALU_DEP_2)
	v_add_f64 v[22:23], v[94:95], v[22:23]
	v_fma_f64 v[94:95], v[12:13], s[50:51], v[100:101]
	v_fma_f64 v[110:111], v[12:13], s[54:55], v[100:101]
	s_delay_alu instid0(VALU_DEP_2) | instskip(SKIP_1) | instid1(VALU_DEP_3)
	v_add_f64 v[26:27], v[94:95], v[26:27]
	v_mul_f64 v[94:95], v[92:93], s[16:17]
	v_add_f64 v[28:29], v[110:111], v[28:29]
	s_delay_alu instid0(VALU_DEP_2) | instskip(SKIP_1) | instid1(VALU_DEP_2)
	;; [unrolled: 13-line block ×5, first 2 shown]
	v_fma_f64 v[100:101], v[8:9], s[40:41], v[94:95]
	v_fma_f64 v[94:95], v[8:9], s[40:41], -v[94:95]
	v_add_f64 v[56:57], v[100:101], v[56:57]
	v_mul_f64 v[100:101], v[10:11], s[40:41]
	s_delay_alu instid0(VALU_DEP_3) | instskip(NEXT) | instid1(VALU_DEP_2)
	v_add_f64 v[54:55], v[94:95], v[54:55]
	v_fma_f64 v[94:95], v[12:13], s[38:39], v[100:101]
	v_fma_f64 v[110:111], v[12:13], s[48:49], v[100:101]
	s_delay_alu instid0(VALU_DEP_2) | instskip(SKIP_2) | instid1(VALU_DEP_4)
	v_add_f64 v[58:59], v[94:95], v[58:59]
	v_mul_f64 v[94:95], v[92:93], s[28:29]
	v_mul_f64 v[92:93], v[92:93], s[34:35]
	v_add_f64 v[60:61], v[110:111], v[60:61]
	s_delay_alu instid0(VALU_DEP_3) | instskip(SKIP_1) | instid1(VALU_DEP_2)
	v_fma_f64 v[100:101], v[8:9], s[26:27], v[94:95]
	v_fma_f64 v[94:95], v[8:9], s[26:27], -v[94:95]
	v_add_f64 v[64:65], v[100:101], v[64:65]
	v_mul_f64 v[100:101], v[10:11], s[26:27]
	s_delay_alu instid0(VALU_DEP_3) | instskip(SKIP_1) | instid1(VALU_DEP_3)
	v_add_f64 v[62:63], v[94:95], v[62:63]
	v_mul_f64 v[10:11], v[10:11], s[30:31]
	v_fma_f64 v[94:95], v[12:13], s[28:29], v[100:101]
	v_fma_f64 v[110:111], v[12:13], s[24:25], v[100:101]
	s_delay_alu instid0(VALU_DEP_3) | instskip(NEXT) | instid1(VALU_DEP_3)
	v_fma_f64 v[100:101], v[12:13], s[36:37], v[10:11]
	v_add_f64 v[66:67], v[94:95], v[66:67]
	v_fma_f64 v[94:95], v[8:9], s[30:31], v[92:93]
	v_fma_f64 v[8:9], v[8:9], s[30:31], -v[92:93]
	s_delay_alu instid0(VALU_DEP_4) | instskip(SKIP_1) | instid1(VALU_DEP_4)
	v_add_f64 v[100:101], v[100:101], v[104:105]
	v_add_f64 v[106:107], v[110:111], v[106:107]
	;; [unrolled: 1-line block ×3, first 2 shown]
	s_delay_alu instid0(VALU_DEP_4) | instskip(SKIP_4) | instid1(VALU_DEP_4)
	v_add_f64 v[6:7], v[8:9], v[6:7]
	v_fma_f64 v[8:9], v[12:13], s[34:35], v[10:11]
	v_add_f64 v[10:11], v[108:109], v[88:89]
	v_add_f64 v[88:89], v[108:109], -v[88:89]
	v_add_f64 v[12:13], v[200:201], -v[90:91]
	v_add_f64 v[4:5], v[8:9], v[4:5]
	v_add_f64 v[8:9], v[200:201], v[90:91]
	s_delay_alu instid0(VALU_DEP_4) | instskip(NEXT) | instid1(VALU_DEP_1)
	v_mul_f64 v[90:91], v[88:89], s[10:11]
	v_fma_f64 v[92:93], v[8:9], s[14:15], v[90:91]
	v_fma_f64 v[90:91], v[8:9], s[14:15], -v[90:91]
	s_delay_alu instid0(VALU_DEP_2) | instskip(SKIP_1) | instid1(VALU_DEP_3)
	v_add_f64 v[16:17], v[92:93], v[16:17]
	v_mul_f64 v[92:93], v[10:11], s[14:15]
	v_add_f64 v[14:15], v[90:91], v[14:15]
	s_delay_alu instid0(VALU_DEP_2) | instskip(SKIP_1) | instid1(VALU_DEP_2)
	v_fma_f64 v[90:91], v[12:13], s[10:11], v[92:93]
	v_fma_f64 v[102:103], v[12:13], s[16:17], v[92:93]
	v_add_f64 v[18:19], v[90:91], v[18:19]
	v_mul_f64 v[90:91], v[88:89], s[48:49]
	s_delay_alu instid0(VALU_DEP_3) | instskip(NEXT) | instid1(VALU_DEP_2)
	v_add_f64 v[20:21], v[102:103], v[20:21]
	v_fma_f64 v[92:93], v[8:9], s[40:41], v[90:91]
	v_fma_f64 v[90:91], v[8:9], s[40:41], -v[90:91]
	s_delay_alu instid0(VALU_DEP_2) | instskip(SKIP_1) | instid1(VALU_DEP_3)
	v_add_f64 v[24:25], v[92:93], v[24:25]
	v_mul_f64 v[92:93], v[10:11], s[40:41]
	v_add_f64 v[22:23], v[90:91], v[22:23]
	s_delay_alu instid0(VALU_DEP_2) | instskip(SKIP_1) | instid1(VALU_DEP_2)
	v_fma_f64 v[90:91], v[12:13], s[48:49], v[92:93]
	v_fma_f64 v[102:103], v[12:13], s[38:39], v[92:93]
	v_add_f64 v[26:27], v[90:91], v[26:27]
	v_mul_f64 v[90:91], v[88:89], s[34:35]
	s_delay_alu instid0(VALU_DEP_3) | instskip(NEXT) | instid1(VALU_DEP_2)
	v_add_f64 v[28:29], v[102:103], v[28:29]
	;; [unrolled: 13-line block ×5, first 2 shown]
	v_fma_f64 v[92:93], v[8:9], s[2:3], v[90:91]
	v_fma_f64 v[90:91], v[8:9], s[2:3], -v[90:91]
	s_delay_alu instid0(VALU_DEP_2) | instskip(SKIP_1) | instid1(VALU_DEP_3)
	v_add_f64 v[56:57], v[92:93], v[56:57]
	v_mul_f64 v[92:93], v[10:11], s[2:3]
	v_add_f64 v[54:55], v[90:91], v[54:55]
	s_delay_alu instid0(VALU_DEP_2) | instskip(SKIP_1) | instid1(VALU_DEP_2)
	v_fma_f64 v[90:91], v[12:13], s[0:1], v[92:93]
	v_fma_f64 v[102:103], v[12:13], s[8:9], v[92:93]
	v_add_f64 v[58:59], v[90:91], v[58:59]
	v_mul_f64 v[90:91], v[88:89], s[46:47]
	v_mul_f64 v[88:89], v[88:89], s[24:25]
	s_delay_alu instid0(VALU_DEP_4) | instskip(NEXT) | instid1(VALU_DEP_3)
	v_add_f64 v[60:61], v[102:103], v[60:61]
	v_fma_f64 v[92:93], v[8:9], s[42:43], v[90:91]
	v_fma_f64 v[90:91], v[8:9], s[42:43], -v[90:91]
	s_delay_alu instid0(VALU_DEP_2) | instskip(SKIP_1) | instid1(VALU_DEP_3)
	v_add_f64 v[64:65], v[92:93], v[64:65]
	v_mul_f64 v[92:93], v[10:11], s[42:43]
	v_add_f64 v[62:63], v[90:91], v[62:63]
	v_mul_f64 v[10:11], v[10:11], s[26:27]
	s_delay_alu instid0(VALU_DEP_3) | instskip(SKIP_1) | instid1(VALU_DEP_3)
	v_fma_f64 v[90:91], v[12:13], s[46:47], v[92:93]
	v_fma_f64 v[102:103], v[12:13], s[44:45], v[92:93]
	;; [unrolled: 1-line block ×3, first 2 shown]
	s_delay_alu instid0(VALU_DEP_3) | instskip(SKIP_2) | instid1(VALU_DEP_4)
	v_add_f64 v[66:67], v[90:91], v[66:67]
	v_fma_f64 v[90:91], v[8:9], s[26:27], v[88:89]
	v_fma_f64 v[8:9], v[8:9], s[26:27], -v[88:89]
	v_add_f64 v[92:93], v[92:93], v[100:101]
	v_add_f64 v[102:103], v[102:103], v[106:107]
	s_delay_alu instid0(VALU_DEP_4) | instskip(NEXT) | instid1(VALU_DEP_4)
	v_add_f64 v[90:91], v[90:91], v[94:95]
	v_add_f64 v[6:7], v[8:9], v[6:7]
	v_fma_f64 v[8:9], v[12:13], s[24:25], v[10:11]
	v_add_f64 v[10:11], v[96:97], v[84:85]
	v_add_f64 v[84:85], v[96:97], -v[84:85]
	v_add_f64 v[12:13], v[98:99], -v[86:87]
	s_delay_alu instid0(VALU_DEP_4) | instskip(SKIP_1) | instid1(VALU_DEP_4)
	v_add_f64 v[4:5], v[8:9], v[4:5]
	v_add_f64 v[8:9], v[98:99], v[86:87]
	v_mul_f64 v[86:87], v[84:85], s[24:25]
	s_delay_alu instid0(VALU_DEP_1) | instskip(SKIP_1) | instid1(VALU_DEP_2)
	v_fma_f64 v[88:89], v[8:9], s[26:27], v[86:87]
	v_fma_f64 v[86:87], v[8:9], s[26:27], -v[86:87]
	v_add_f64 v[16:17], v[88:89], v[16:17]
	v_mul_f64 v[88:89], v[10:11], s[26:27]
	s_delay_alu instid0(VALU_DEP_3) | instskip(NEXT) | instid1(VALU_DEP_2)
	v_add_f64 v[14:15], v[86:87], v[14:15]
	v_fma_f64 v[86:87], v[12:13], s[24:25], v[88:89]
	v_fma_f64 v[94:95], v[12:13], s[28:29], v[88:89]
	s_delay_alu instid0(VALU_DEP_2) | instskip(SKIP_1) | instid1(VALU_DEP_3)
	v_add_f64 v[18:19], v[86:87], v[18:19]
	v_mul_f64 v[86:87], v[84:85], s[16:17]
	v_add_f64 v[20:21], v[94:95], v[20:21]
	s_delay_alu instid0(VALU_DEP_2) | instskip(SKIP_1) | instid1(VALU_DEP_2)
	v_fma_f64 v[88:89], v[8:9], s[14:15], v[86:87]
	v_fma_f64 v[86:87], v[8:9], s[14:15], -v[86:87]
	v_add_f64 v[24:25], v[88:89], v[24:25]
	v_mul_f64 v[88:89], v[10:11], s[14:15]
	s_delay_alu instid0(VALU_DEP_3) | instskip(NEXT) | instid1(VALU_DEP_2)
	v_add_f64 v[22:23], v[86:87], v[22:23]
	v_fma_f64 v[86:87], v[12:13], s[16:17], v[88:89]
	v_fma_f64 v[94:95], v[12:13], s[10:11], v[88:89]
	s_delay_alu instid0(VALU_DEP_2) | instskip(SKIP_1) | instid1(VALU_DEP_3)
	v_add_f64 v[26:27], v[86:87], v[26:27]
	v_mul_f64 v[86:87], v[84:85], s[46:47]
	v_add_f64 v[28:29], v[94:95], v[28:29]
	s_delay_alu instid0(VALU_DEP_2) | instskip(SKIP_1) | instid1(VALU_DEP_2)
	;; [unrolled: 13-line block ×5, first 2 shown]
	v_fma_f64 v[88:89], v[8:9], s[30:31], v[86:87]
	v_fma_f64 v[86:87], v[8:9], s[30:31], -v[86:87]
	v_add_f64 v[56:57], v[88:89], v[56:57]
	v_mul_f64 v[88:89], v[10:11], s[30:31]
	s_delay_alu instid0(VALU_DEP_3) | instskip(NEXT) | instid1(VALU_DEP_2)
	v_add_f64 v[54:55], v[86:87], v[54:55]
	v_fma_f64 v[86:87], v[12:13], s[36:37], v[88:89]
	v_fma_f64 v[94:95], v[12:13], s[34:35], v[88:89]
	s_delay_alu instid0(VALU_DEP_2) | instskip(SKIP_2) | instid1(VALU_DEP_4)
	v_add_f64 v[58:59], v[86:87], v[58:59]
	v_mul_f64 v[86:87], v[84:85], s[50:51]
	v_mul_f64 v[84:85], v[84:85], s[20:21]
	v_add_f64 v[60:61], v[94:95], v[60:61]
	s_delay_alu instid0(VALU_DEP_3) | instskip(SKIP_1) | instid1(VALU_DEP_2)
	v_fma_f64 v[88:89], v[8:9], s[52:53], v[86:87]
	v_fma_f64 v[86:87], v[8:9], s[52:53], -v[86:87]
	v_add_f64 v[64:65], v[88:89], v[64:65]
	v_mul_f64 v[88:89], v[10:11], s[52:53]
	s_delay_alu instid0(VALU_DEP_3) | instskip(SKIP_1) | instid1(VALU_DEP_3)
	v_add_f64 v[62:63], v[86:87], v[62:63]
	v_mul_f64 v[10:11], v[10:11], s[18:19]
	v_fma_f64 v[86:87], v[12:13], s[50:51], v[88:89]
	v_fma_f64 v[94:95], v[12:13], s[54:55], v[88:89]
	s_delay_alu instid0(VALU_DEP_2) | instskip(SKIP_2) | instid1(VALU_DEP_4)
	v_add_f64 v[66:67], v[86:87], v[66:67]
	v_fma_f64 v[86:87], v[8:9], s[18:19], v[84:85]
	v_fma_f64 v[8:9], v[8:9], s[18:19], -v[84:85]
	v_add_f64 v[94:95], v[94:95], v[102:103]
	s_delay_alu instid0(VALU_DEP_3) | instskip(NEXT) | instid1(VALU_DEP_3)
	v_add_f64 v[96:97], v[86:87], v[90:91]
	v_add_f64 v[6:7], v[8:9], v[6:7]
	v_fma_f64 v[8:9], v[12:13], s[20:21], v[10:11]
	v_fma_f64 v[86:87], v[12:13], s[22:23], v[10:11]
	v_add_f64 v[10:11], v[80:81], v[82:83]
	s_delay_alu instid0(VALU_DEP_3) | instskip(SKIP_4) | instid1(VALU_DEP_2)
	v_add_f64 v[4:5], v[8:9], v[4:5]
	v_add_f64 v[8:9], v[0:1], v[2:3]
	v_add_f64 v[0:1], v[0:1], -v[2:3]
	v_add_f64 v[2:3], v[80:81], -v[82:83]
	v_add_f64 v[92:93], v[86:87], v[92:93]
	v_mul_f64 v[12:13], v[2:3], s[38:39]
	s_delay_alu instid0(VALU_DEP_1) | instskip(SKIP_1) | instid1(VALU_DEP_2)
	v_fma_f64 v[80:81], v[8:9], s[40:41], v[12:13]
	v_fma_f64 v[12:13], v[8:9], s[40:41], -v[12:13]
	v_add_f64 v[16:17], v[80:81], v[16:17]
	v_mul_f64 v[80:81], v[10:11], s[40:41]
	s_delay_alu instid0(VALU_DEP_3) | instskip(NEXT) | instid1(VALU_DEP_2)
	v_add_f64 v[12:13], v[12:13], v[14:15]
	v_fma_f64 v[14:15], v[0:1], s[38:39], v[80:81]
	v_fma_f64 v[82:83], v[0:1], s[48:49], v[80:81]
	s_delay_alu instid0(VALU_DEP_2) | instskip(SKIP_1) | instid1(VALU_DEP_3)
	v_add_f64 v[14:15], v[14:15], v[18:19]
	v_mul_f64 v[18:19], v[2:3], s[20:21]
	v_add_f64 v[20:21], v[82:83], v[20:21]
	s_delay_alu instid0(VALU_DEP_2) | instskip(SKIP_1) | instid1(VALU_DEP_2)
	v_fma_f64 v[80:81], v[8:9], s[18:19], v[18:19]
	v_fma_f64 v[18:19], v[8:9], s[18:19], -v[18:19]
	v_add_f64 v[24:25], v[80:81], v[24:25]
	v_mul_f64 v[80:81], v[10:11], s[18:19]
	s_delay_alu instid0(VALU_DEP_3) | instskip(NEXT) | instid1(VALU_DEP_2)
	v_add_f64 v[18:19], v[18:19], v[22:23]
	v_fma_f64 v[22:23], v[0:1], s[20:21], v[80:81]
	v_fma_f64 v[82:83], v[0:1], s[22:23], v[80:81]
	s_delay_alu instid0(VALU_DEP_2) | instskip(SKIP_1) | instid1(VALU_DEP_3)
	v_add_f64 v[22:23], v[22:23], v[26:27]
	v_mul_f64 v[26:27], v[2:3], s[8:9]
	v_add_f64 v[28:29], v[82:83], v[28:29]
	s_delay_alu instid0(VALU_DEP_2) | instskip(SKIP_1) | instid1(VALU_DEP_2)
	;; [unrolled: 13-line block ×5, first 2 shown]
	v_fma_f64 v[38:39], v[8:9], s[52:53], v[34:35]
	v_fma_f64 v[34:35], v[8:9], s[52:53], -v[34:35]
	v_add_f64 v[202:203], v[38:39], v[56:57]
	v_mul_f64 v[38:39], v[10:11], s[52:53]
	s_delay_alu instid0(VALU_DEP_3) | instskip(NEXT) | instid1(VALU_DEP_2)
	v_add_f64 v[198:199], v[34:35], v[54:55]
	v_fma_f64 v[34:35], v[0:1], s[50:51], v[38:39]
	v_fma_f64 v[40:41], v[0:1], s[54:55], v[38:39]
	s_delay_alu instid0(VALU_DEP_2) | instskip(SKIP_2) | instid1(VALU_DEP_4)
	v_add_f64 v[196:197], v[34:35], v[58:59]
	v_mul_f64 v[34:35], v[2:3], s[34:35]
	v_mul_f64 v[2:3], v[2:3], s[10:11]
	v_add_f64 v[200:201], v[40:41], v[60:61]
	s_delay_alu instid0(VALU_DEP_3) | instskip(SKIP_1) | instid1(VALU_DEP_2)
	v_fma_f64 v[38:39], v[8:9], s[30:31], v[34:35]
	v_fma_f64 v[34:35], v[8:9], s[30:31], -v[34:35]
	v_add_f64 v[128:129], v[38:39], v[64:65]
	v_mul_f64 v[38:39], v[10:11], s[30:31]
	s_delay_alu instid0(VALU_DEP_3) | instskip(SKIP_1) | instid1(VALU_DEP_3)
	v_add_f64 v[124:125], v[34:35], v[62:63]
	v_mul_f64 v[10:11], v[10:11], s[14:15]
	v_fma_f64 v[34:35], v[0:1], s[34:35], v[38:39]
	v_fma_f64 v[40:41], v[0:1], s[36:37], v[38:39]
	s_delay_alu instid0(VALU_DEP_2) | instskip(SKIP_2) | instid1(VALU_DEP_4)
	v_add_f64 v[122:123], v[34:35], v[66:67]
	v_fma_f64 v[34:35], v[8:9], s[14:15], v[2:3]
	v_fma_f64 v[2:3], v[8:9], s[14:15], -v[2:3]
	v_add_f64 v[126:127], v[40:41], v[94:95]
	s_delay_alu instid0(VALU_DEP_3) | instskip(SKIP_4) | instid1(VALU_DEP_4)
	v_add_f64 v[118:119], v[34:35], v[96:97]
	v_fma_f64 v[34:35], v[0:1], s[16:17], v[10:11]
	v_fma_f64 v[0:1], v[0:1], s[10:11], v[10:11]
	v_add_f64 v[2:3], v[2:3], v[6:7]
	v_mul_f64 v[10:11], v[120:121], s[18:19]
	v_add_f64 v[116:117], v[34:35], v[92:93]
	s_delay_alu instid0(VALU_DEP_4) | instskip(SKIP_1) | instid1(VALU_DEP_1)
	v_add_f64 v[0:1], v[0:1], v[4:5]
	v_mul_f64 v[4:5], v[130:131], s[50:51]
	v_fma_f64 v[6:7], v[114:115], s[52:53], v[4:5]
	v_fma_f64 v[4:5], v[114:115], s[52:53], -v[4:5]
	s_delay_alu instid0(VALU_DEP_2) | instskip(SKIP_1) | instid1(VALU_DEP_3)
	v_add_f64 v[92:93], v[6:7], v[16:17]
	v_mul_f64 v[6:7], v[120:121], s[52:53]
	v_add_f64 v[72:73], v[4:5], v[12:13]
	v_mul_f64 v[16:17], v[130:131], s[10:11]
	s_delay_alu instid0(VALU_DEP_3) | instskip(SKIP_1) | instid1(VALU_DEP_3)
	v_fma_f64 v[4:5], v[112:113], s[50:51], v[6:7]
	v_fma_f64 v[8:9], v[112:113], s[54:55], v[6:7]
	;; [unrolled: 1-line block ×3, first 2 shown]
	v_fma_f64 v[16:17], v[114:115], s[14:15], -v[16:17]
	s_delay_alu instid0(VALU_DEP_4) | instskip(SKIP_4) | instid1(VALU_DEP_4)
	v_add_f64 v[74:75], v[4:5], v[14:15]
	v_mul_f64 v[4:5], v[130:131], s[44:45]
	v_add_f64 v[94:95], v[8:9], v[20:21]
	v_add_f64 v[12:13], v[12:13], v[128:129]
	v_add_f64 v[16:17], v[16:17], v[124:125]
	v_fma_f64 v[6:7], v[114:115], s[42:43], v[4:5]
	v_fma_f64 v[4:5], v[114:115], s[42:43], -v[4:5]
	s_delay_alu instid0(VALU_DEP_2) | instskip(SKIP_1) | instid1(VALU_DEP_3)
	v_add_f64 v[96:97], v[6:7], v[24:25]
	v_mul_f64 v[6:7], v[120:121], s[42:43]
	v_add_f64 v[76:77], v[4:5], v[18:19]
	v_mul_f64 v[24:25], v[130:131], s[0:1]
	v_mul_f64 v[18:19], v[120:121], s[14:15]
	s_delay_alu instid0(VALU_DEP_4) | instskip(SKIP_1) | instid1(VALU_DEP_4)
	v_fma_f64 v[4:5], v[112:113], s[44:45], v[6:7]
	v_fma_f64 v[8:9], v[112:113], s[46:47], v[6:7]
	;; [unrolled: 1-line block ×3, first 2 shown]
	v_fma_f64 v[24:25], v[114:115], s[2:3], -v[24:25]
	v_fma_f64 v[14:15], v[112:113], s[16:17], v[18:19]
	v_fma_f64 v[18:19], v[112:113], s[10:11], v[18:19]
	v_add_f64 v[78:79], v[4:5], v[22:23]
	v_mul_f64 v[4:5], v[130:131], s[38:39]
	v_add_f64 v[98:99], v[8:9], v[28:29]
	v_add_f64 v[24:25], v[24:25], v[2:3]
	;; [unrolled: 1-line block ×5, first 2 shown]
	v_fma_f64 v[6:7], v[114:115], s[40:41], v[4:5]
	v_fma_f64 v[4:5], v[114:115], s[40:41], -v[4:5]
	s_delay_alu instid0(VALU_DEP_2) | instskip(SKIP_1) | instid1(VALU_DEP_3)
	v_add_f64 v[100:101], v[6:7], v[32:33]
	v_mul_f64 v[6:7], v[120:121], s[40:41]
	v_add_f64 v[80:81], v[4:5], v[26:27]
	v_mul_f64 v[26:27], v[120:121], s[2:3]
	s_delay_alu instid0(VALU_DEP_3) | instskip(SKIP_1) | instid1(VALU_DEP_3)
	v_fma_f64 v[4:5], v[112:113], s[38:39], v[6:7]
	v_fma_f64 v[8:9], v[112:113], s[48:49], v[6:7]
	;; [unrolled: 1-line block ×4, first 2 shown]
	s_delay_alu instid0(VALU_DEP_4) | instskip(SKIP_4) | instid1(VALU_DEP_4)
	v_add_f64 v[82:83], v[4:5], v[30:31]
	v_mul_f64 v[4:5], v[130:131], s[34:35]
	v_add_f64 v[102:103], v[8:9], v[36:37]
	v_add_f64 v[22:23], v[22:23], v[116:117]
	;; [unrolled: 1-line block ×3, first 2 shown]
	v_fma_f64 v[6:7], v[114:115], s[30:31], v[4:5]
	v_fma_f64 v[4:5], v[114:115], s[30:31], -v[4:5]
	s_delay_alu instid0(VALU_DEP_2) | instskip(SKIP_1) | instid1(VALU_DEP_3)
	v_add_f64 v[104:105], v[6:7], v[104:105]
	v_mul_f64 v[6:7], v[120:121], s[30:31]
	v_add_f64 v[84:85], v[4:5], v[84:85]
	s_delay_alu instid0(VALU_DEP_2) | instskip(SKIP_1) | instid1(VALU_DEP_2)
	v_fma_f64 v[4:5], v[112:113], s[34:35], v[6:7]
	v_fma_f64 v[8:9], v[112:113], s[36:37], v[6:7]
	v_add_f64 v[86:87], v[4:5], v[86:87]
	v_mul_f64 v[4:5], v[130:131], s[24:25]
	s_delay_alu instid0(VALU_DEP_3) | instskip(NEXT) | instid1(VALU_DEP_2)
	v_add_f64 v[106:107], v[8:9], v[106:107]
	v_fma_f64 v[6:7], v[114:115], s[26:27], v[4:5]
	v_fma_f64 v[4:5], v[114:115], s[26:27], -v[4:5]
	s_delay_alu instid0(VALU_DEP_2) | instskip(SKIP_1) | instid1(VALU_DEP_3)
	v_add_f64 v[108:109], v[6:7], v[108:109]
	v_mul_f64 v[6:7], v[120:121], s[26:27]
	v_add_f64 v[88:89], v[4:5], v[88:89]
	s_delay_alu instid0(VALU_DEP_2) | instskip(SKIP_3) | instid1(VALU_DEP_4)
	v_fma_f64 v[8:9], v[112:113], s[28:29], v[6:7]
	v_fma_f64 v[4:5], v[112:113], s[24:25], v[6:7]
	v_fma_f64 v[6:7], v[112:113], s[22:23], v[10:11]
	v_fma_f64 v[10:11], v[112:113], s[20:21], v[10:11]
	v_add_f64 v[110:111], v[8:9], v[110:111]
	v_mul_f64 v[8:9], v[130:131], s[20:21]
	v_add_f64 v[90:91], v[4:5], v[90:91]
	v_add_f64 v[6:7], v[6:7], v[200:201]
	;; [unrolled: 1-line block ×3, first 2 shown]
	s_delay_alu instid0(VALU_DEP_4) | instskip(SKIP_1) | instid1(VALU_DEP_2)
	v_fma_f64 v[4:5], v[114:115], s[18:19], v[8:9]
	v_fma_f64 v[8:9], v[114:115], s[18:19], -v[8:9]
	v_add_f64 v[4:5], v[4:5], v[202:203]
	s_delay_alu instid0(VALU_DEP_2)
	v_add_f64 v[8:9], v[8:9], v[198:199]
	ds_store_b128 v252, v[68:71]
	ds_store_b128 v252, v[92:95] offset:272
	ds_store_b128 v252, v[96:99] offset:544
	ds_store_b128 v252, v[100:103] offset:816
	ds_store_b128 v252, v[104:107] offset:1088
	ds_store_b128 v252, v[108:111] offset:1360
	ds_store_b128 v252, v[4:7] offset:1632
	ds_store_b128 v252, v[12:15] offset:1904
	ds_store_b128 v252, v[20:23] offset:2176
	ds_store_b128 v252, v[24:27] offset:2448
	ds_store_b128 v252, v[16:19] offset:2720
	ds_store_b128 v252, v[8:11] offset:2992
	ds_store_b128 v252, v[88:91] offset:3264
	ds_store_b128 v252, v[84:87] offset:3536
	ds_store_b128 v252, v[80:83] offset:3808
	ds_store_b128 v252, v[76:79] offset:4080
	ds_store_b128 v252, v[72:75] offset:4352
	s_waitcnt lgkmcnt(0)
	s_barrier
	buffer_gl0_inv
	ds_load_b128 v[68:71], v246
	ds_load_b128 v[96:99], v246 offset:4624
	ds_load_b128 v[100:103], v246 offset:9248
	;; [unrolled: 1-line block ×11, first 2 shown]
	s_and_saveexec_b32 s0, vcc_lo
	s_cbranch_execz .LBB0_7
; %bb.6:
	ds_load_b128 v[88:91], v246 offset:3264
	ds_load_b128 v[84:87], v246 offset:7888
	ds_load_b128 v[80:83], v246 offset:12512
	ds_load_b128 v[76:79], v246 offset:17136
	ds_load_b128 v[72:75], v246 offset:21760
	ds_load_b128 v[0:3], v246 offset:26384
	s_waitcnt lgkmcnt(0)
	scratch_store_b128 off, v[0:3], off offset:4 ; 16-byte Folded Spill
.LBB0_7:
	s_or_b32 exec_lo, exec_lo, s0
	s_waitcnt lgkmcnt(8)
	v_mul_f64 v[0:1], v[138:139], v[128:129]
	s_waitcnt lgkmcnt(6)
	v_mul_f64 v[2:3], v[174:175], v[196:197]
	;; [unrolled: 2-line block ×4, first 2 shown]
	v_mul_f64 v[8:9], v[154:155], v[96:97]
	v_mul_f64 v[10:11], v[138:139], v[130:131]
	;; [unrolled: 1-line block ×16, first 2 shown]
	s_mov_b32 s0, 0xe8584caa
	s_mov_b32 s1, 0xbfebb67a
	;; [unrolled: 1-line block ×4, first 2 shown]
	v_fma_f64 v[0:1], v[136:137], v[130:131], -v[0:1]
	v_fma_f64 v[2:3], v[172:173], v[198:199], -v[2:3]
	;; [unrolled: 1-line block ×5, first 2 shown]
	v_fma_f64 v[10:11], v[136:137], v[128:129], v[10:11]
	v_fma_f64 v[12:13], v[172:173], v[196:197], v[12:13]
	v_fma_f64 v[14:15], v[156:157], v[110:111], -v[14:15]
	v_fma_f64 v[16:17], v[164:165], v[120:121], v[16:17]
	v_fma_f64 v[18:19], v[168:169], v[124:125], v[18:19]
	v_fma_f64 v[20:21], v[152:153], v[96:97], v[20:21]
	v_fma_f64 v[22:23], v[160:161], v[100:101], v[22:23]
	v_fma_f64 v[24:25], v[160:161], v[102:103], -v[24:25]
	v_fma_f64 v[26:27], v[184:185], v[104:105], v[26:27]
	v_fma_f64 v[28:29], v[184:185], v[106:107], -v[28:29]
	v_fma_f64 v[30:31], v[156:157], v[108:109], v[30:31]
	v_fma_f64 v[34:35], v[180:181], v[112:113], v[34:35]
	v_fma_f64 v[36:37], v[180:181], v[114:115], -v[36:37]
	v_fma_f64 v[38:39], v[188:189], v[116:117], v[38:39]
	v_fma_f64 v[40:41], v[188:189], v[118:119], -v[40:41]
	v_add_f64 v[32:33], v[0:1], v[2:3]
	v_add_f64 v[56:57], v[0:1], -v[2:3]
	v_add_f64 v[42:43], v[4:5], v[6:7]
	v_add_f64 v[62:63], v[4:5], -v[6:7]
	v_add_f64 v[0:1], v[8:9], v[0:1]
	v_add_f64 v[44:45], v[10:11], v[12:13]
	v_add_f64 v[46:47], v[10:11], -v[12:13]
	v_add_f64 v[4:5], v[14:15], v[4:5]
	;; [unrolled: 3-line block ×3, first 2 shown]
	v_add_f64 v[52:53], v[22:23], v[26:27]
	v_add_f64 v[54:55], v[24:25], v[28:29]
	v_add_f64 v[66:67], v[24:25], -v[28:29]
	v_add_f64 v[24:25], v[70:71], v[24:25]
	v_add_f64 v[16:17], v[30:31], v[16:17]
	;; [unrolled: 1-line block ×3, first 2 shown]
	v_fma_f64 v[32:33], v[32:33], -0.5, v[8:9]
	v_add_f64 v[8:9], v[92:93], v[34:35]
	v_fma_f64 v[42:43], v[42:43], -0.5, v[14:15]
	v_fma_f64 v[44:45], v[44:45], -0.5, v[20:21]
	v_add_f64 v[20:21], v[36:37], -v[40:41]
	v_add_f64 v[36:37], v[94:95], v[36:37]
	v_fma_f64 v[48:49], v[48:49], -0.5, v[30:31]
	v_add_f64 v[10:11], v[10:11], v[12:13]
	v_add_f64 v[12:13], v[0:1], v[2:3]
	v_fma_f64 v[14:15], v[52:53], -0.5, v[68:69]
	v_fma_f64 v[30:31], v[54:55], -0.5, v[70:71]
	v_add_f64 v[24:25], v[24:25], v[28:29]
	v_add_f64 v[16:17], v[16:17], v[18:19]
	;; [unrolled: 1-line block ×3, first 2 shown]
	v_fma_f64 v[60:61], v[60:61], -0.5, v[94:95]
	v_fma_f64 v[58:59], v[46:47], s[2:3], v[32:33]
	v_fma_f64 v[32:33], v[46:47], s[0:1], v[32:33]
	v_add_f64 v[46:47], v[34:35], v[38:39]
	v_fma_f64 v[64:65], v[50:51], s[2:3], v[42:43]
	v_fma_f64 v[42:43], v[50:51], s[0:1], v[42:43]
	v_add_f64 v[50:51], v[68:69], v[22:23]
	v_add_f64 v[22:23], v[22:23], -v[26:27]
	v_fma_f64 v[52:53], v[56:57], s[0:1], v[44:45]
	v_add_f64 v[34:35], v[34:35], -v[38:39]
	v_fma_f64 v[44:45], v[56:57], s[2:3], v[44:45]
	v_fma_f64 v[68:69], v[62:63], s[0:1], v[48:49]
	;; [unrolled: 1-line block ×3, first 2 shown]
	v_add_f64 v[28:29], v[8:9], v[38:39]
	v_add_f64 v[36:37], v[36:37], v[40:41]
	v_fma_f64 v[38:39], v[66:67], s[0:1], v[14:15]
	v_fma_f64 v[40:41], v[66:67], s[2:3], v[14:15]
	v_add_f64 v[2:3], v[24:25], v[12:13]
	v_add_f64 v[6:7], v[24:25], -v[12:13]
	v_mul_f64 v[54:55], v[58:59], s[0:1]
	v_mul_f64 v[58:59], v[58:59], 0.5
	v_mul_f64 v[56:57], v[32:33], s[0:1]
	v_mul_f64 v[32:33], v[32:33], -0.5
	v_fma_f64 v[46:47], v[46:47], -0.5, v[92:93]
	v_mul_f64 v[62:63], v[64:65], s[0:1]
	v_mul_f64 v[64:65], v[64:65], 0.5
	v_mul_f64 v[70:71], v[42:43], s[0:1]
	v_mul_f64 v[42:43], v[42:43], -0.5
	v_add_f64 v[26:27], v[50:51], v[26:27]
	v_fma_f64 v[50:51], v[22:23], s[2:3], v[30:31]
	v_fma_f64 v[30:31], v[22:23], s[0:1], v[30:31]
	v_add_f64 v[8:9], v[28:29], v[16:17]
	v_add_f64 v[12:13], v[28:29], -v[16:17]
	v_add_f64 v[14:15], v[36:37], -v[18:19]
	v_fma_f64 v[54:55], v[52:53], 0.5, v[54:55]
	v_fma_f64 v[52:53], v[52:53], s[2:3], v[58:59]
	v_fma_f64 v[56:57], v[44:45], -0.5, v[56:57]
	v_fma_f64 v[32:33], v[44:45], s[2:3], v[32:33]
	v_fma_f64 v[44:45], v[20:21], s[0:1], v[46:47]
	;; [unrolled: 1-line block ×4, first 2 shown]
	v_fma_f64 v[60:61], v[68:69], 0.5, v[62:63]
	v_fma_f64 v[62:63], v[68:69], s[2:3], v[64:65]
	v_fma_f64 v[46:47], v[20:21], s[2:3], v[46:47]
	v_fma_f64 v[64:65], v[48:49], -0.5, v[70:71]
	v_fma_f64 v[42:43], v[48:49], s[2:3], v[42:43]
	v_add_f64 v[0:1], v[26:27], v[10:11]
	v_add_f64 v[4:5], v[26:27], -v[10:11]
	v_add_f64 v[10:11], v[36:37], v[18:19]
	v_add_f64 v[16:17], v[38:39], v[54:55]
	;; [unrolled: 1-line block ×5, first 2 shown]
	v_add_f64 v[24:25], v[38:39], -v[54:55]
	v_add_f64 v[26:27], v[50:51], -v[52:53]
	;; [unrolled: 1-line block ×3, first 2 shown]
	v_add_f64 v[92:93], v[44:45], v[60:61]
	v_add_f64 v[94:95], v[58:59], v[62:63]
	v_add_f64 v[100:101], v[44:45], -v[60:61]
	v_add_f64 v[96:97], v[46:47], v[64:65]
	v_add_f64 v[98:99], v[34:35], v[42:43]
	v_add_f64 v[102:103], v[58:59], -v[62:63]
	v_add_f64 v[70:71], v[30:31], -v[32:33]
	v_add_f64 v[104:105], v[46:47], -v[64:65]
	v_add_f64 v[106:107], v[34:35], -v[42:43]
	ds_store_b128 v246, v[0:3]
	ds_store_b128 v246, v[8:11] offset:1632
	ds_store_b128 v246, v[4:7] offset:13872
	;; [unrolled: 1-line block ×11, first 2 shown]
	s_and_saveexec_b32 s8, vcc_lo
	s_cbranch_execz .LBB0_9
; %bb.8:
	scratch_load_b128 v[20:23], off, off offset:4 ; 16-byte Folded Reload
	v_mul_f64 v[0:1], v[134:135], v[76:77]
	v_mul_f64 v[4:5], v[134:135], v[78:79]
	v_mul_f64 v[8:9], v[142:143], v[84:85]
	v_mul_f64 v[10:11], v[150:151], v[80:81]
	v_mul_f64 v[12:13], v[178:179], v[72:73]
	v_mul_f64 v[14:15], v[150:151], v[82:83]
	v_mul_f64 v[16:17], v[178:179], v[74:75]
	v_mul_f64 v[18:19], v[142:143], v[86:87]
	v_fma_f64 v[0:1], v[132:133], v[78:79], -v[0:1]
	v_fma_f64 v[4:5], v[132:133], v[76:77], v[4:5]
	v_fma_f64 v[8:9], v[140:141], v[86:87], -v[8:9]
	v_fma_f64 v[10:11], v[148:149], v[82:83], -v[10:11]
	;; [unrolled: 1-line block ×3, first 2 shown]
	v_fma_f64 v[14:15], v[148:149], v[80:81], v[14:15]
	v_fma_f64 v[16:17], v[176:177], v[72:73], v[16:17]
	;; [unrolled: 1-line block ×3, first 2 shown]
	v_add_f64 v[34:35], v[90:91], v[10:11]
	v_add_f64 v[26:27], v[10:11], v[12:13]
	s_delay_alu instid0(VALU_DEP_4) | instskip(SKIP_3) | instid1(VALU_DEP_2)
	v_add_f64 v[30:31], v[14:15], v[16:17]
	s_waitcnt vmcnt(0)
	v_mul_f64 v[2:3], v[146:147], v[20:21]
	v_mul_f64 v[6:7], v[146:147], v[22:23]
	v_fma_f64 v[2:3], v[144:145], v[22:23], -v[2:3]
	s_delay_alu instid0(VALU_DEP_2) | instskip(NEXT) | instid1(VALU_DEP_2)
	v_fma_f64 v[6:7], v[144:145], v[20:21], v[6:7]
	v_add_f64 v[20:21], v[0:1], v[2:3]
	s_delay_alu instid0(VALU_DEP_2)
	v_add_f64 v[22:23], v[4:5], v[6:7]
	v_add_f64 v[24:25], v[4:5], -v[6:7]
	v_add_f64 v[28:29], v[0:1], -v[2:3]
	v_add_f64 v[0:1], v[8:9], v[0:1]
	v_add_f64 v[4:5], v[18:19], v[4:5]
	v_fma_f64 v[20:21], v[20:21], -0.5, v[8:9]
	v_fma_f64 v[22:23], v[22:23], -0.5, v[18:19]
	v_add_f64 v[8:9], v[10:11], -v[12:13]
	v_add_f64 v[10:11], v[88:89], v[14:15]
	v_fma_f64 v[18:19], v[30:31], -0.5, v[88:89]
	v_add_f64 v[12:13], v[34:35], v[12:13]
	v_add_f64 v[34:35], v[0:1], v[2:3]
	;; [unrolled: 1-line block ×3, first 2 shown]
	v_fma_f64 v[32:33], v[24:25], s[0:1], v[20:21]
	v_fma_f64 v[20:21], v[24:25], s[2:3], v[20:21]
	v_add_f64 v[24:25], v[14:15], -v[16:17]
	v_fma_f64 v[14:15], v[26:27], -0.5, v[90:91]
	v_fma_f64 v[26:27], v[28:29], s[2:3], v[22:23]
	v_fma_f64 v[22:23], v[28:29], s[0:1], v[22:23]
	v_add_f64 v[10:11], v[10:11], v[16:17]
	v_fma_f64 v[36:37], v[8:9], s[2:3], v[18:19]
	v_fma_f64 v[8:9], v[8:9], s[0:1], v[18:19]
	v_add_f64 v[6:7], v[12:13], v[34:35]
	v_add_f64 v[2:3], v[12:13], -v[34:35]
	v_mul_f64 v[30:31], v[32:33], -0.5
	v_mul_f64 v[28:29], v[20:21], 0.5
	v_mul_f64 v[20:21], v[20:21], s[0:1]
	v_mul_f64 v[32:33], v[32:33], s[0:1]
	v_fma_f64 v[16:17], v[24:25], s[0:1], v[14:15]
	v_fma_f64 v[24:25], v[24:25], s[2:3], v[14:15]
	v_add_f64 v[0:1], v[10:11], -v[4:5]
	v_add_f64 v[4:5], v[10:11], v[4:5]
	v_fma_f64 v[14:15], v[26:27], s[2:3], v[30:31]
	v_fma_f64 v[28:29], v[22:23], s[2:3], v[28:29]
	v_fma_f64 v[20:21], v[22:23], 0.5, v[20:21]
	v_fma_f64 v[26:27], v[26:27], -0.5, v[32:33]
	s_delay_alu instid0(VALU_DEP_4)
	v_add_f64 v[10:11], v[16:17], -v[14:15]
	v_add_f64 v[14:15], v[16:17], v[14:15]
	v_add_f64 v[18:19], v[24:25], v[28:29]
	;; [unrolled: 1-line block ×4, first 2 shown]
	v_add_f64 v[22:23], v[24:25], -v[28:29]
	v_add_f64 v[20:21], v[8:9], -v[20:21]
	;; [unrolled: 1-line block ×3, first 2 shown]
	ds_store_b128 v246, v[4:7] offset:3264
	ds_store_b128 v246, v[16:19] offset:7888
	;; [unrolled: 1-line block ×6, first 2 shown]
.LBB0_9:
	s_or_b32 exec_lo, exec_lo, s8
	s_waitcnt lgkmcnt(0)
	s_waitcnt_vscnt null, 0x0
	s_barrier
	buffer_gl0_inv
	ds_load_b128 v[0:3], v246
	ds_load_b128 v[4:7], v246 offset:1632
	ds_load_b128 v[8:11], v246 offset:3264
	ds_load_b128 v[12:15], v246 offset:4896
	ds_load_b128 v[16:19], v246 offset:6528
	ds_load_b128 v[20:23], v246 offset:8160
	s_clause 0x2
	scratch_load_b128 v[110:113], off, off offset:28
	scratch_load_b64 v[24:25], off, off offset:20
	scratch_load_b32 v59, off, off
	s_mov_b32 s0, 0x8b5e3104
	s_mov_b32 s1, 0x3f42e5b8
	s_mul_i32 s3, s5, 0x660
	s_mul_i32 s2, s4, 0x660
	ds_load_b128 v[68:71], v246 offset:11424
	s_waitcnt vmcnt(2) lgkmcnt(6)
	v_mul_f64 v[32:33], v[112:113], v[2:3]
	v_mul_f64 v[34:35], v[112:113], v[0:1]
	scratch_load_b128 v[112:115], off, off offset:44 ; 16-byte Folded Reload
	s_waitcnt vmcnt(2)
	v_mov_b32_e32 v58, v24
	ds_load_b128 v[24:27], v246 offset:9792
	s_waitcnt vmcnt(1)
	v_mad_u64_u32 v[30:31], null, s4, v59, 0
	v_mad_u64_u32 v[28:29], null, s6, v58, 0
	s_mul_hi_u32 s6, s4, 0x660
	s_delay_alu instid0(SALU_CYCLE_1) | instskip(NEXT) | instid1(VALU_DEP_1)
	s_add_i32 s6, s6, s3
	v_mad_u64_u32 v[56:57], null, s7, v58, v[29:30]
	s_delay_alu instid0(VALU_DEP_1) | instskip(NEXT) | instid1(VALU_DEP_1)
	v_mov_b32_e32 v29, v56
	v_lshlrev_b64 v[28:29], 4, v[28:29]
	v_mad_u64_u32 v[57:58], null, s5, v59, v[31:32]
	v_fma_f64 v[0:1], v[110:111], v[0:1], v[32:33]
	v_fma_f64 v[2:3], v[110:111], v[2:3], -v[34:35]
	s_delay_alu instid0(VALU_DEP_4) | instskip(SKIP_2) | instid1(VALU_DEP_1)
	v_add_co_u32 v110, vcc_lo, s12, v28
	v_add_co_ci_u32_e32 v111, vcc_lo, s13, v29, vcc_lo
	v_mov_b32_e32 v31, v57
	v_lshlrev_b64 v[30:31], 4, v[30:31]
	s_delay_alu instid0(VALU_DEP_1) | instskip(NEXT) | instid1(VALU_DEP_2)
	v_add_co_u32 v30, vcc_lo, v110, v30
	v_add_co_ci_u32_e32 v31, vcc_lo, v111, v31, vcc_lo
	v_mul_f64 v[0:1], v[0:1], s[0:1]
	v_mul_f64 v[2:3], v[2:3], s[0:1]
	s_waitcnt vmcnt(0) lgkmcnt(6)
	v_mul_f64 v[36:37], v[114:115], v[6:7]
	v_mul_f64 v[38:39], v[114:115], v[4:5]
	scratch_load_b128 v[114:117], off, off offset:60 ; 16-byte Folded Reload
	v_fma_f64 v[4:5], v[112:113], v[4:5], v[36:37]
	v_fma_f64 v[6:7], v[112:113], v[6:7], -v[38:39]
	v_add_co_u32 v112, vcc_lo, v30, s2
	v_add_co_ci_u32_e32 v113, vcc_lo, s6, v31, vcc_lo
	s_delay_alu instid0(VALU_DEP_4) | instskip(NEXT) | instid1(VALU_DEP_4)
	v_mul_f64 v[4:5], v[4:5], s[0:1]
	v_mul_f64 v[6:7], v[6:7], s[0:1]
	s_waitcnt vmcnt(0) lgkmcnt(5)
	v_mul_f64 v[40:41], v[116:117], v[10:11]
	v_mul_f64 v[42:43], v[116:117], v[8:9]
	scratch_load_b128 v[116:119], off, off offset:76 ; 16-byte Folded Reload
	v_fma_f64 v[8:9], v[114:115], v[8:9], v[40:41]
	v_fma_f64 v[10:11], v[114:115], v[10:11], -v[42:43]
	s_delay_alu instid0(VALU_DEP_2) | instskip(NEXT) | instid1(VALU_DEP_2)
	v_mul_f64 v[8:9], v[8:9], s[0:1]
	v_mul_f64 v[10:11], v[10:11], s[0:1]
	s_waitcnt vmcnt(0) lgkmcnt(4)
	v_mul_f64 v[44:45], v[118:119], v[14:15]
	v_mul_f64 v[46:47], v[118:119], v[12:13]
	scratch_load_b128 v[118:121], off, off offset:92 ; 16-byte Folded Reload
	v_fma_f64 v[12:13], v[116:117], v[12:13], v[44:45]
	v_fma_f64 v[14:15], v[116:117], v[14:15], -v[46:47]
	v_add_co_u32 v116, vcc_lo, v112, s2
	v_add_co_ci_u32_e32 v117, vcc_lo, s6, v113, vcc_lo
	s_delay_alu instid0(VALU_DEP_4) | instskip(NEXT) | instid1(VALU_DEP_4)
	v_mul_f64 v[12:13], v[12:13], s[0:1]
	v_mul_f64 v[14:15], v[14:15], s[0:1]
	s_waitcnt vmcnt(0) lgkmcnt(3)
	v_mul_f64 v[48:49], v[120:121], v[18:19]
	v_mul_f64 v[50:51], v[120:121], v[16:17]
	scratch_load_b128 v[120:123], off, off offset:108 ; 16-byte Folded Reload
	ds_load_b128 v[72:75], v246 offset:13056
	ds_load_b128 v[76:79], v246 offset:14688
	;; [unrolled: 1-line block ×9, first 2 shown]
	v_fma_f64 v[16:17], v[118:119], v[16:17], v[48:49]
	v_fma_f64 v[18:19], v[118:119], v[18:19], -v[50:51]
	s_delay_alu instid0(VALU_DEP_2) | instskip(NEXT) | instid1(VALU_DEP_2)
	v_mul_f64 v[16:17], v[16:17], s[0:1]
	v_mul_f64 v[18:19], v[18:19], s[0:1]
	s_waitcnt vmcnt(0) lgkmcnt(11)
	v_mul_f64 v[52:53], v[122:123], v[22:23]
	v_mul_f64 v[54:55], v[122:123], v[20:21]
	scratch_load_b128 v[122:125], off, off offset:124 ; 16-byte Folded Reload
	v_fma_f64 v[20:21], v[120:121], v[20:21], v[52:53]
	v_fma_f64 v[22:23], v[120:121], v[22:23], -v[54:55]
	scratch_load_b128 v[118:121], off, off offset:172 ; 16-byte Folded Reload
	v_mul_f64 v[20:21], v[20:21], s[0:1]
	v_mul_f64 v[22:23], v[22:23], s[0:1]
	s_waitcnt vmcnt(1) lgkmcnt(9)
	v_mul_f64 v[58:59], v[124:125], v[26:27]
	v_mul_f64 v[60:61], v[124:125], v[24:25]
	scratch_load_b128 v[124:127], off, off offset:140 ; 16-byte Folded Reload
	s_waitcnt vmcnt(1) lgkmcnt(7)
	v_mul_f64 v[32:33], v[120:121], v[78:79]
	v_mul_f64 v[34:35], v[120:121], v[76:77]
	v_fma_f64 v[24:25], v[122:123], v[24:25], v[58:59]
	v_fma_f64 v[26:27], v[122:123], v[26:27], -v[60:61]
	v_add_co_u32 v58, vcc_lo, v116, s2
	v_add_co_ci_u32_e32 v59, vcc_lo, s6, v117, vcc_lo
	v_fma_f64 v[32:33], v[118:119], v[76:77], v[32:33]
	s_waitcnt vmcnt(0)
	v_mul_f64 v[62:63], v[126:127], v[70:71]
	v_mul_f64 v[64:65], v[126:127], v[68:69]
	scratch_load_b128 v[126:129], off, off offset:156 ; 16-byte Folded Reload
	v_fma_f64 v[60:61], v[124:125], v[68:69], v[62:63]
	v_fma_f64 v[62:63], v[124:125], v[70:71], -v[64:65]
	v_add_co_u32 v64, vcc_lo, v58, s2
	v_add_co_ci_u32_e32 v65, vcc_lo, s6, v59, vcc_lo
	s_delay_alu instid0(VALU_DEP_2) | instskip(NEXT) | instid1(VALU_DEP_2)
	v_add_co_u32 v70, vcc_lo, v64, s2
	v_add_co_ci_u32_e32 v71, vcc_lo, s6, v65, vcc_lo
	s_waitcnt vmcnt(0)
	v_mul_f64 v[66:67], v[128:129], v[74:75]
	v_mul_f64 v[108:109], v[128:129], v[72:73]
	scratch_load_b128 v[128:131], off, off offset:188 ; 16-byte Folded Reload
	v_fma_f64 v[66:67], v[126:127], v[72:73], v[66:67]
	v_fma_f64 v[68:69], v[126:127], v[74:75], -v[108:109]
	s_waitcnt vmcnt(0) lgkmcnt(6)
	v_mul_f64 v[36:37], v[130:131], v[82:83]
	v_mul_f64 v[38:39], v[130:131], v[80:81]
	scratch_load_b128 v[130:133], off, off offset:204 ; 16-byte Folded Reload
	s_waitcnt vmcnt(0) lgkmcnt(5)
	v_mul_f64 v[40:41], v[132:133], v[86:87]
	v_mul_f64 v[42:43], v[132:133], v[84:85]
	scratch_load_b128 v[132:135], off, off offset:220 ; 16-byte Folded Reload
	;; [unrolled: 4-line block ×6, first 2 shown]
	s_clause 0x1
	global_store_b128 v[30:31], v[0:3], off
	global_store_b128 v[112:113], v[4:7], off
	v_fma_f64 v[30:31], v[118:119], v[78:79], -v[34:35]
	v_fma_f64 v[34:35], v[128:129], v[80:81], v[36:37]
	v_fma_f64 v[36:37], v[128:129], v[82:83], -v[38:39]
	s_clause 0x2
	global_store_b128 v[116:117], v[8:11], off
	global_store_b128 v[58:59], v[12:15], off
	;; [unrolled: 1-line block ×4, first 2 shown]
	v_fma_f64 v[20:21], v[130:131], v[84:85], v[40:41]
	v_fma_f64 v[22:23], v[130:131], v[86:87], -v[42:43]
	v_fma_f64 v[38:39], v[132:133], v[88:89], v[44:45]
	v_fma_f64 v[40:41], v[132:133], v[90:91], -v[46:47]
	;; [unrolled: 2-line block ×4, first 2 shown]
	v_mul_f64 v[0:1], v[24:25], s[0:1]
	v_mul_f64 v[2:3], v[26:27], s[0:1]
	;; [unrolled: 1-line block ×4, first 2 shown]
	v_add_co_u32 v58, vcc_lo, v70, s2
	v_add_co_ci_u32_e32 v59, vcc_lo, s6, v71, vcc_lo
	v_mul_f64 v[8:9], v[66:67], s[0:1]
	s_delay_alu instid0(VALU_DEP_3) | instskip(NEXT) | instid1(VALU_DEP_3)
	v_add_co_u32 v60, vcc_lo, v58, s2
	v_add_co_ci_u32_e32 v61, vcc_lo, s6, v59, vcc_lo
	v_mul_f64 v[10:11], v[68:69], s[0:1]
	s_delay_alu instid0(VALU_DEP_3) | instskip(NEXT) | instid1(VALU_DEP_3)
	v_add_co_u32 v62, vcc_lo, v60, s2
	v_add_co_ci_u32_e32 v63, vcc_lo, s6, v61, vcc_lo
	v_mul_f64 v[12:13], v[32:33], s[0:1]
	s_delay_alu instid0(VALU_DEP_3) | instskip(NEXT) | instid1(VALU_DEP_3)
	v_add_co_u32 v64, vcc_lo, v62, s2
	v_add_co_ci_u32_e32 v65, vcc_lo, s6, v63, vcc_lo
	v_fma_f64 v[50:51], v[138:139], v[100:101], v[56:57]
	v_fma_f64 v[52:53], v[138:139], v[102:103], -v[28:29]
	v_mul_f64 v[14:15], v[30:31], s[0:1]
	v_mul_f64 v[16:17], v[34:35], s[0:1]
	;; [unrolled: 1-line block ×11, first 2 shown]
	v_add_co_u32 v44, vcc_lo, v64, s2
	v_add_co_ci_u32_e32 v45, vcc_lo, s6, v65, vcc_lo
	global_store_b128 v[58:59], v[0:3], off
	v_add_co_u32 v0, vcc_lo, v44, s2
	v_add_co_ci_u32_e32 v1, vcc_lo, s6, v45, vcc_lo
	global_store_b128 v[60:61], v[4:7], off
	;; [unrolled: 3-line block ×3, first 2 shown]
	v_add_co_u32 v4, vcc_lo, v2, s2
	v_add_co_ci_u32_e32 v5, vcc_lo, s6, v3, vcc_lo
	s_delay_alu instid0(VALU_DEP_2) | instskip(NEXT) | instid1(VALU_DEP_2)
	v_add_co_u32 v6, vcc_lo, v4, s2
	v_add_co_ci_u32_e32 v7, vcc_lo, s6, v5, vcc_lo
	v_mul_f64 v[36:37], v[50:51], s[0:1]
	v_mul_f64 v[38:39], v[52:53], s[0:1]
	s_delay_alu instid0(VALU_DEP_4) | instskip(NEXT) | instid1(VALU_DEP_4)
	v_add_co_u32 v8, vcc_lo, v6, s2
	v_add_co_ci_u32_e32 v9, vcc_lo, s6, v7, vcc_lo
	global_store_b128 v[64:65], v[12:15], off
	global_store_b128 v[44:45], v[16:19], off
	;; [unrolled: 1-line block ×3, first 2 shown]
	v_add_co_u32 v0, vcc_lo, v8, s2
	v_add_co_ci_u32_e32 v1, vcc_lo, s6, v9, vcc_lo
	s_waitcnt vmcnt(0) lgkmcnt(0)
	v_mul_f64 v[110:111], v[142:143], v[106:107]
	v_mul_f64 v[114:115], v[142:143], v[104:105]
	s_delay_alu instid0(VALU_DEP_2) | instskip(NEXT) | instid1(VALU_DEP_2)
	v_fma_f64 v[54:55], v[140:141], v[104:105], v[110:111]
	v_fma_f64 v[56:57], v[140:141], v[106:107], -v[114:115]
	s_delay_alu instid0(VALU_DEP_2) | instskip(NEXT) | instid1(VALU_DEP_2)
	v_mul_f64 v[40:41], v[54:55], s[0:1]
	v_mul_f64 v[42:43], v[56:57], s[0:1]
	global_store_b128 v[2:3], v[24:27], off
	global_store_b128 v[4:5], v[28:31], off
	;; [unrolled: 1-line block ×5, first 2 shown]
.LBB0_10:
	s_nop 0
	s_sendmsg sendmsg(MSG_DEALLOC_VGPRS)
	s_endpgm
	.section	.rodata,"a",@progbits
	.p2align	6, 0x0
	.amdhsa_kernel bluestein_single_back_len1734_dim1_dp_op_CI_CI
		.amdhsa_group_segment_fixed_size 27744
		.amdhsa_private_segment_fixed_size 320
		.amdhsa_kernarg_size 104
		.amdhsa_user_sgpr_count 15
		.amdhsa_user_sgpr_dispatch_ptr 0
		.amdhsa_user_sgpr_queue_ptr 0
		.amdhsa_user_sgpr_kernarg_segment_ptr 1
		.amdhsa_user_sgpr_dispatch_id 0
		.amdhsa_user_sgpr_private_segment_size 0
		.amdhsa_wavefront_size32 1
		.amdhsa_uses_dynamic_stack 0
		.amdhsa_enable_private_segment 1
		.amdhsa_system_sgpr_workgroup_id_x 1
		.amdhsa_system_sgpr_workgroup_id_y 0
		.amdhsa_system_sgpr_workgroup_id_z 0
		.amdhsa_system_sgpr_workgroup_info 0
		.amdhsa_system_vgpr_workitem_id 0
		.amdhsa_next_free_vgpr 256
		.amdhsa_next_free_sgpr 58
		.amdhsa_reserve_vcc 1
		.amdhsa_float_round_mode_32 0
		.amdhsa_float_round_mode_16_64 0
		.amdhsa_float_denorm_mode_32 3
		.amdhsa_float_denorm_mode_16_64 3
		.amdhsa_dx10_clamp 1
		.amdhsa_ieee_mode 1
		.amdhsa_fp16_overflow 0
		.amdhsa_workgroup_processor_mode 1
		.amdhsa_memory_ordered 1
		.amdhsa_forward_progress 0
		.amdhsa_shared_vgpr_count 0
		.amdhsa_exception_fp_ieee_invalid_op 0
		.amdhsa_exception_fp_denorm_src 0
		.amdhsa_exception_fp_ieee_div_zero 0
		.amdhsa_exception_fp_ieee_overflow 0
		.amdhsa_exception_fp_ieee_underflow 0
		.amdhsa_exception_fp_ieee_inexact 0
		.amdhsa_exception_int_div_zero 0
	.end_amdhsa_kernel
	.text
.Lfunc_end0:
	.size	bluestein_single_back_len1734_dim1_dp_op_CI_CI, .Lfunc_end0-bluestein_single_back_len1734_dim1_dp_op_CI_CI
                                        ; -- End function
	.section	.AMDGPU.csdata,"",@progbits
; Kernel info:
; codeLenInByte = 37904
; NumSgprs: 60
; NumVgprs: 256
; ScratchSize: 320
; MemoryBound: 0
; FloatMode: 240
; IeeeMode: 1
; LDSByteSize: 27744 bytes/workgroup (compile time only)
; SGPRBlocks: 7
; VGPRBlocks: 31
; NumSGPRsForWavesPerEU: 60
; NumVGPRsForWavesPerEU: 256
; Occupancy: 4
; WaveLimiterHint : 1
; COMPUTE_PGM_RSRC2:SCRATCH_EN: 1
; COMPUTE_PGM_RSRC2:USER_SGPR: 15
; COMPUTE_PGM_RSRC2:TRAP_HANDLER: 0
; COMPUTE_PGM_RSRC2:TGID_X_EN: 1
; COMPUTE_PGM_RSRC2:TGID_Y_EN: 0
; COMPUTE_PGM_RSRC2:TGID_Z_EN: 0
; COMPUTE_PGM_RSRC2:TIDIG_COMP_CNT: 0
	.text
	.p2alignl 7, 3214868480
	.fill 96, 4, 3214868480
	.type	__hip_cuid_c33c00b35241d7c0,@object ; @__hip_cuid_c33c00b35241d7c0
	.section	.bss,"aw",@nobits
	.globl	__hip_cuid_c33c00b35241d7c0
__hip_cuid_c33c00b35241d7c0:
	.byte	0                               ; 0x0
	.size	__hip_cuid_c33c00b35241d7c0, 1

	.ident	"AMD clang version 19.0.0git (https://github.com/RadeonOpenCompute/llvm-project roc-6.4.0 25133 c7fe45cf4b819c5991fe208aaa96edf142730f1d)"
	.section	".note.GNU-stack","",@progbits
	.addrsig
	.addrsig_sym __hip_cuid_c33c00b35241d7c0
	.amdgpu_metadata
---
amdhsa.kernels:
  - .args:
      - .actual_access:  read_only
        .address_space:  global
        .offset:         0
        .size:           8
        .value_kind:     global_buffer
      - .actual_access:  read_only
        .address_space:  global
        .offset:         8
        .size:           8
        .value_kind:     global_buffer
      - .actual_access:  read_only
        .address_space:  global
        .offset:         16
        .size:           8
        .value_kind:     global_buffer
      - .actual_access:  read_only
        .address_space:  global
        .offset:         24
        .size:           8
        .value_kind:     global_buffer
      - .actual_access:  read_only
        .address_space:  global
        .offset:         32
        .size:           8
        .value_kind:     global_buffer
      - .offset:         40
        .size:           8
        .value_kind:     by_value
      - .address_space:  global
        .offset:         48
        .size:           8
        .value_kind:     global_buffer
      - .address_space:  global
        .offset:         56
        .size:           8
        .value_kind:     global_buffer
      - .address_space:  global
        .offset:         64
        .size:           8
        .value_kind:     global_buffer
      - .address_space:  global
        .offset:         72
        .size:           8
        .value_kind:     global_buffer
      - .offset:         80
        .size:           4
        .value_kind:     by_value
      - .address_space:  global
        .offset:         88
        .size:           8
        .value_kind:     global_buffer
      - .address_space:  global
        .offset:         96
        .size:           8
        .value_kind:     global_buffer
    .group_segment_fixed_size: 27744
    .kernarg_segment_align: 8
    .kernarg_segment_size: 104
    .language:       OpenCL C
    .language_version:
      - 2
      - 0
    .max_flat_workgroup_size: 102
    .name:           bluestein_single_back_len1734_dim1_dp_op_CI_CI
    .private_segment_fixed_size: 320
    .sgpr_count:     60
    .sgpr_spill_count: 0
    .symbol:         bluestein_single_back_len1734_dim1_dp_op_CI_CI.kd
    .uniform_work_group_size: 1
    .uses_dynamic_stack: false
    .vgpr_count:     256
    .vgpr_spill_count: 83
    .wavefront_size: 32
    .workgroup_processor_mode: 1
amdhsa.target:   amdgcn-amd-amdhsa--gfx1100
amdhsa.version:
  - 1
  - 2
...

	.end_amdgpu_metadata
